;; amdgpu-corpus repo=ROCm/rocFFT kind=compiled arch=gfx1030 opt=O3
	.text
	.amdgcn_target "amdgcn-amd-amdhsa--gfx1030"
	.amdhsa_code_object_version 6
	.protected	fft_rtc_fwd_len1092_factors_2_2_13_7_3_wgs_52_tpt_52_halfLds_dp_ip_CI_unitstride_sbrr_R2C_dirReg ; -- Begin function fft_rtc_fwd_len1092_factors_2_2_13_7_3_wgs_52_tpt_52_halfLds_dp_ip_CI_unitstride_sbrr_R2C_dirReg
	.globl	fft_rtc_fwd_len1092_factors_2_2_13_7_3_wgs_52_tpt_52_halfLds_dp_ip_CI_unitstride_sbrr_R2C_dirReg
	.p2align	8
	.type	fft_rtc_fwd_len1092_factors_2_2_13_7_3_wgs_52_tpt_52_halfLds_dp_ip_CI_unitstride_sbrr_R2C_dirReg,@function
fft_rtc_fwd_len1092_factors_2_2_13_7_3_wgs_52_tpt_52_halfLds_dp_ip_CI_unitstride_sbrr_R2C_dirReg: ; @fft_rtc_fwd_len1092_factors_2_2_13_7_3_wgs_52_tpt_52_halfLds_dp_ip_CI_unitstride_sbrr_R2C_dirReg
; %bb.0:
	s_clause 0x2
	s_load_dwordx4 s[8:11], s[4:5], 0x0
	s_load_dwordx2 s[2:3], s[4:5], 0x50
	s_load_dwordx2 s[12:13], s[4:5], 0x18
	v_mul_u32_u24_e32 v1, 0x4ed, v0
	v_mov_b32_e32 v3, 0
	v_add_nc_u32_sdwa v5, s6, v1 dst_sel:DWORD dst_unused:UNUSED_PAD src0_sel:DWORD src1_sel:WORD_1
	v_mov_b32_e32 v1, 0
	v_mov_b32_e32 v6, v3
	v_mov_b32_e32 v2, 0
	s_waitcnt lgkmcnt(0)
	v_cmp_lt_u64_e64 s0, s[10:11], 2
	s_and_b32 vcc_lo, exec_lo, s0
	s_cbranch_vccnz .LBB0_8
; %bb.1:
	s_load_dwordx2 s[0:1], s[4:5], 0x10
	v_mov_b32_e32 v1, 0
	s_add_u32 s6, s12, 8
	v_mov_b32_e32 v2, 0
	s_addc_u32 s7, s13, 0
	s_mov_b64 s[16:17], 1
	s_waitcnt lgkmcnt(0)
	s_add_u32 s14, s0, 8
	s_addc_u32 s15, s1, 0
.LBB0_2:                                ; =>This Inner Loop Header: Depth=1
	s_load_dwordx2 s[18:19], s[14:15], 0x0
                                        ; implicit-def: $vgpr7_vgpr8
	s_mov_b32 s0, exec_lo
	s_waitcnt lgkmcnt(0)
	v_or_b32_e32 v4, s19, v6
	v_cmpx_ne_u64_e32 0, v[3:4]
	s_xor_b32 s1, exec_lo, s0
	s_cbranch_execz .LBB0_4
; %bb.3:                                ;   in Loop: Header=BB0_2 Depth=1
	v_cvt_f32_u32_e32 v4, s18
	v_cvt_f32_u32_e32 v7, s19
	s_sub_u32 s0, 0, s18
	s_subb_u32 s20, 0, s19
	v_fmac_f32_e32 v4, 0x4f800000, v7
	v_rcp_f32_e32 v4, v4
	v_mul_f32_e32 v4, 0x5f7ffffc, v4
	v_mul_f32_e32 v7, 0x2f800000, v4
	v_trunc_f32_e32 v7, v7
	v_fmac_f32_e32 v4, 0xcf800000, v7
	v_cvt_u32_f32_e32 v7, v7
	v_cvt_u32_f32_e32 v4, v4
	v_mul_lo_u32 v8, s0, v7
	v_mul_hi_u32 v9, s0, v4
	v_mul_lo_u32 v10, s20, v4
	v_add_nc_u32_e32 v8, v9, v8
	v_mul_lo_u32 v9, s0, v4
	v_add_nc_u32_e32 v8, v8, v10
	v_mul_hi_u32 v10, v4, v9
	v_mul_lo_u32 v11, v4, v8
	v_mul_hi_u32 v12, v4, v8
	v_mul_hi_u32 v13, v7, v9
	v_mul_lo_u32 v9, v7, v9
	v_mul_hi_u32 v14, v7, v8
	v_mul_lo_u32 v8, v7, v8
	v_add_co_u32 v10, vcc_lo, v10, v11
	v_add_co_ci_u32_e32 v11, vcc_lo, 0, v12, vcc_lo
	v_add_co_u32 v9, vcc_lo, v10, v9
	v_add_co_ci_u32_e32 v9, vcc_lo, v11, v13, vcc_lo
	v_add_co_ci_u32_e32 v10, vcc_lo, 0, v14, vcc_lo
	v_add_co_u32 v8, vcc_lo, v9, v8
	v_add_co_ci_u32_e32 v9, vcc_lo, 0, v10, vcc_lo
	v_add_co_u32 v4, vcc_lo, v4, v8
	v_add_co_ci_u32_e32 v7, vcc_lo, v7, v9, vcc_lo
	v_mul_hi_u32 v8, s0, v4
	v_mul_lo_u32 v10, s20, v4
	v_mul_lo_u32 v9, s0, v7
	v_add_nc_u32_e32 v8, v8, v9
	v_mul_lo_u32 v9, s0, v4
	v_add_nc_u32_e32 v8, v8, v10
	v_mul_hi_u32 v10, v4, v9
	v_mul_lo_u32 v11, v4, v8
	v_mul_hi_u32 v12, v4, v8
	v_mul_hi_u32 v13, v7, v9
	v_mul_lo_u32 v9, v7, v9
	v_mul_hi_u32 v14, v7, v8
	v_mul_lo_u32 v8, v7, v8
	v_add_co_u32 v10, vcc_lo, v10, v11
	v_add_co_ci_u32_e32 v11, vcc_lo, 0, v12, vcc_lo
	v_add_co_u32 v9, vcc_lo, v10, v9
	v_add_co_ci_u32_e32 v9, vcc_lo, v11, v13, vcc_lo
	v_add_co_ci_u32_e32 v10, vcc_lo, 0, v14, vcc_lo
	v_add_co_u32 v8, vcc_lo, v9, v8
	v_add_co_ci_u32_e32 v9, vcc_lo, 0, v10, vcc_lo
	v_add_co_u32 v4, vcc_lo, v4, v8
	v_add_co_ci_u32_e32 v11, vcc_lo, v7, v9, vcc_lo
	v_mul_hi_u32 v13, v5, v4
	v_mad_u64_u32 v[9:10], null, v6, v4, 0
	v_mad_u64_u32 v[7:8], null, v5, v11, 0
	;; [unrolled: 1-line block ×3, first 2 shown]
	v_add_co_u32 v4, vcc_lo, v13, v7
	v_add_co_ci_u32_e32 v7, vcc_lo, 0, v8, vcc_lo
	v_add_co_u32 v4, vcc_lo, v4, v9
	v_add_co_ci_u32_e32 v4, vcc_lo, v7, v10, vcc_lo
	v_add_co_ci_u32_e32 v7, vcc_lo, 0, v12, vcc_lo
	v_add_co_u32 v4, vcc_lo, v4, v11
	v_add_co_ci_u32_e32 v9, vcc_lo, 0, v7, vcc_lo
	v_mul_lo_u32 v10, s19, v4
	v_mad_u64_u32 v[7:8], null, s18, v4, 0
	v_mul_lo_u32 v11, s18, v9
	v_sub_co_u32 v7, vcc_lo, v5, v7
	v_add3_u32 v8, v8, v11, v10
	v_sub_nc_u32_e32 v10, v6, v8
	v_subrev_co_ci_u32_e64 v10, s0, s19, v10, vcc_lo
	v_add_co_u32 v11, s0, v4, 2
	v_add_co_ci_u32_e64 v12, s0, 0, v9, s0
	v_sub_co_u32 v13, s0, v7, s18
	v_sub_co_ci_u32_e32 v8, vcc_lo, v6, v8, vcc_lo
	v_subrev_co_ci_u32_e64 v10, s0, 0, v10, s0
	v_cmp_le_u32_e32 vcc_lo, s18, v13
	v_cmp_eq_u32_e64 s0, s19, v8
	v_cndmask_b32_e64 v13, 0, -1, vcc_lo
	v_cmp_le_u32_e32 vcc_lo, s19, v10
	v_cndmask_b32_e64 v14, 0, -1, vcc_lo
	v_cmp_le_u32_e32 vcc_lo, s18, v7
	;; [unrolled: 2-line block ×3, first 2 shown]
	v_cndmask_b32_e64 v15, 0, -1, vcc_lo
	v_cmp_eq_u32_e32 vcc_lo, s19, v10
	v_cndmask_b32_e64 v7, v15, v7, s0
	v_cndmask_b32_e32 v10, v14, v13, vcc_lo
	v_add_co_u32 v13, vcc_lo, v4, 1
	v_add_co_ci_u32_e32 v14, vcc_lo, 0, v9, vcc_lo
	v_cmp_ne_u32_e32 vcc_lo, 0, v10
	v_cndmask_b32_e32 v8, v14, v12, vcc_lo
	v_cndmask_b32_e32 v10, v13, v11, vcc_lo
	v_cmp_ne_u32_e32 vcc_lo, 0, v7
	v_cndmask_b32_e32 v8, v9, v8, vcc_lo
	v_cndmask_b32_e32 v7, v4, v10, vcc_lo
.LBB0_4:                                ;   in Loop: Header=BB0_2 Depth=1
	s_andn2_saveexec_b32 s0, s1
	s_cbranch_execz .LBB0_6
; %bb.5:                                ;   in Loop: Header=BB0_2 Depth=1
	v_cvt_f32_u32_e32 v4, s18
	s_sub_i32 s1, 0, s18
	v_rcp_iflag_f32_e32 v4, v4
	v_mul_f32_e32 v4, 0x4f7ffffe, v4
	v_cvt_u32_f32_e32 v4, v4
	v_mul_lo_u32 v7, s1, v4
	v_mul_hi_u32 v7, v4, v7
	v_add_nc_u32_e32 v4, v4, v7
	v_mul_hi_u32 v4, v5, v4
	v_mul_lo_u32 v7, v4, s18
	v_add_nc_u32_e32 v8, 1, v4
	v_sub_nc_u32_e32 v7, v5, v7
	v_subrev_nc_u32_e32 v9, s18, v7
	v_cmp_le_u32_e32 vcc_lo, s18, v7
	v_cndmask_b32_e32 v7, v7, v9, vcc_lo
	v_cndmask_b32_e32 v4, v4, v8, vcc_lo
	v_cmp_le_u32_e32 vcc_lo, s18, v7
	v_add_nc_u32_e32 v8, 1, v4
	v_cndmask_b32_e32 v7, v4, v8, vcc_lo
	v_mov_b32_e32 v8, v3
.LBB0_6:                                ;   in Loop: Header=BB0_2 Depth=1
	s_or_b32 exec_lo, exec_lo, s0
	s_load_dwordx2 s[0:1], s[6:7], 0x0
	v_mul_lo_u32 v4, v8, s18
	v_mul_lo_u32 v11, v7, s19
	v_mad_u64_u32 v[9:10], null, v7, s18, 0
	s_add_u32 s16, s16, 1
	s_addc_u32 s17, s17, 0
	s_add_u32 s6, s6, 8
	s_addc_u32 s7, s7, 0
	;; [unrolled: 2-line block ×3, first 2 shown]
	v_add3_u32 v4, v10, v11, v4
	v_sub_co_u32 v5, vcc_lo, v5, v9
	v_sub_co_ci_u32_e32 v4, vcc_lo, v6, v4, vcc_lo
	s_waitcnt lgkmcnt(0)
	v_mul_lo_u32 v6, s1, v5
	v_mul_lo_u32 v4, s0, v4
	v_mad_u64_u32 v[1:2], null, s0, v5, v[1:2]
	v_cmp_ge_u64_e64 s0, s[16:17], s[10:11]
	s_and_b32 vcc_lo, exec_lo, s0
	v_add3_u32 v2, v6, v2, v4
	s_cbranch_vccnz .LBB0_9
; %bb.7:                                ;   in Loop: Header=BB0_2 Depth=1
	v_mov_b32_e32 v5, v7
	v_mov_b32_e32 v6, v8
	s_branch .LBB0_2
.LBB0_8:
	v_mov_b32_e32 v8, v6
	v_mov_b32_e32 v7, v5
.LBB0_9:
	s_lshl_b64 s[0:1], s[10:11], 3
	v_mul_hi_u32 v3, 0x4ec4ec5, v0
	s_add_u32 s0, s12, s0
	s_addc_u32 s1, s13, s1
	s_load_dwordx2 s[4:5], s[4:5], 0x20
	s_load_dwordx2 s[0:1], s[0:1], 0x0
	v_mul_u32_u24_e32 v3, 52, v3
	v_sub_nc_u32_e32 v136, v0, v3
	v_add_nc_u32_e32 v143, 52, v136
	v_add_nc_u32_e32 v152, 0x68, v136
	;; [unrolled: 1-line block ×5, first 2 shown]
	s_waitcnt lgkmcnt(0)
	v_cmp_gt_u64_e32 vcc_lo, s[4:5], v[7:8]
	v_mul_lo_u32 v3, s0, v8
	v_mul_lo_u32 v4, s1, v7
	v_mad_u64_u32 v[0:1], null, s0, v7, v[1:2]
	v_cmp_le_u64_e64 s0, s[4:5], v[7:8]
	v_add_nc_u32_e32 v148, 0x138, v136
	v_add_nc_u32_e32 v147, 0x16c, v136
	;; [unrolled: 1-line block ×5, first 2 shown]
	v_add3_u32 v1, v4, v1, v3
	s_and_saveexec_b32 s1, s0
	s_xor_b32 s0, exec_lo, s1
; %bb.10:
	v_add_nc_u32_e32 v143, 52, v136
	v_add_nc_u32_e32 v152, 0x68, v136
	;; [unrolled: 1-line block ×10, first 2 shown]
; %bb.11:
	s_or_saveexec_b32 s1, s0
	v_lshlrev_b64 v[140:141], 4, v[0:1]
	v_or_b32_e32 v138, 0x340, v136
	s_xor_b32 exec_lo, exec_lo, s1
	s_cbranch_execz .LBB0_13
; %bb.12:
	v_mov_b32_e32 v137, 0
	v_add_co_u32 v38, s0, s2, v140
	v_add_co_ci_u32_e64 v39, s0, s3, v141, s0
	v_lshlrev_b64 v[0:1], 4, v[136:137]
	v_mov_b32_e32 v139, v137
	v_lshl_add_u32 v84, v136, 4, 0
	v_lshlrev_b64 v[34:35], 4, v[138:139]
	v_add_co_u32 v32, s0, v38, v0
	v_add_co_ci_u32_e64 v33, s0, v39, v1, s0
	s_clause 0x1
	global_load_dwordx4 v[0:3], v[32:33], off
	global_load_dwordx4 v[4:7], v[32:33], off offset:832
	v_add_co_u32 v16, s0, 0x800, v32
	v_add_co_ci_u32_e64 v17, s0, 0, v33, s0
	v_add_co_u32 v28, s0, 0x1000, v32
	v_add_co_ci_u32_e64 v29, s0, 0, v33, s0
	;; [unrolled: 2-line block ×9, first 2 shown]
	s_clause 0x12
	global_load_dwordx4 v[8:11], v[32:33], off offset:1664
	global_load_dwordx4 v[12:15], v[16:17], off offset:448
	;; [unrolled: 1-line block ×14, first 2 shown]
	global_load_dwordx4 v[64:67], v[64:65], off
	global_load_dwordx4 v[68:71], v[68:69], off offset:1856
	global_load_dwordx4 v[72:75], v[76:77], off offset:640
	;; [unrolled: 1-line block ×4, first 2 shown]
	s_waitcnt vmcnt(20)
	ds_write_b128 v84, v[0:3]
	s_waitcnt vmcnt(19)
	ds_write_b128 v84, v[4:7] offset:832
	s_waitcnt vmcnt(18)
	ds_write_b128 v84, v[8:11] offset:1664
	;; [unrolled: 2-line block ×20, first 2 shown]
.LBB0_13:
	s_or_b32 exec_lo, exec_lo, s1
	v_lshlrev_b32_e32 v137, 4, v136
	s_waitcnt lgkmcnt(0)
	s_barrier
	buffer_gl0_inv
	v_lshl_add_u32 v97, v152, 5, 0
	v_add_nc_u32_e32 v198, 0, v137
	v_lshl_add_u32 v96, v143, 5, 0
	v_lshl_add_u32 v204, v149, 5, 0
	;; [unrolled: 1-line block ×4, first 2 shown]
	ds_read_b128 v[0:3], v198 offset:8736
	ds_read_b128 v[4:7], v198
	ds_read_b128 v[8:11], v198 offset:832
	ds_read_b128 v[12:15], v198 offset:9568
	;; [unrolled: 1-line block ×18, first 2 shown]
	v_add_nc_u32_e32 v98, v198, v137
	v_lshl_add_u32 v199, v146, 5, 0
	v_lshl_add_u32 v156, v145, 5, 0
	v_cmp_gt_u32_e64 s0, 26, v136
	s_waitcnt lgkmcnt(13)
	v_add_f64 v[20:21], v[24:25], -v[20:21]
	v_add_f64 v[22:23], v[26:27], -v[22:23]
	s_waitcnt lgkmcnt(11)
	v_add_f64 v[88:89], v[28:29], -v[32:33]
	v_add_f64 v[90:91], v[30:31], -v[34:35]
	;; [unrolled: 3-line block ×5, first 2 shown]
	v_add_f64 v[80:81], v[4:5], -v[0:1]
	v_add_f64 v[82:83], v[6:7], -v[2:3]
	;; [unrolled: 1-line block ×4, first 2 shown]
	ds_read_b128 v[0:3], v198 offset:16224
	ds_read_b128 v[84:87], v198 offset:17056
	s_waitcnt lgkmcnt(5)
	v_add_f64 v[64:65], v[60:61], -v[64:65]
	v_add_f64 v[66:67], v[62:63], -v[66:67]
	s_waitcnt lgkmcnt(3)
	v_add_f64 v[68:69], v[72:73], -v[68:69]
	v_add_f64 v[70:71], v[74:75], -v[70:71]
	s_waitcnt lgkmcnt(0)
	s_barrier
	buffer_gl0_inv
	ds_write_b128 v98, v[80:83] offset:16
	ds_write_b128 v96, v[12:15] offset:16
	v_fma_f64 v[4:5], v[4:5], 2.0, -v[80:81]
	v_fma_f64 v[6:7], v[6:7], 2.0, -v[82:83]
	v_add_f64 v[92:93], v[76:77], -v[0:1]
	v_add_f64 v[94:95], v[78:79], -v[2:3]
	;; [unrolled: 1-line block ×4, first 2 shown]
	v_fma_f64 v[8:9], v[8:9], 2.0, -v[12:13]
	v_fma_f64 v[10:11], v[10:11], 2.0, -v[14:15]
	;; [unrolled: 1-line block ×6, first 2 shown]
	ds_write_b128 v97, v[20:23] offset:16
	v_fma_f64 v[20:21], v[44:45], 2.0, -v[48:49]
	v_fma_f64 v[22:23], v[46:47], 2.0, -v[50:51]
	;; [unrolled: 1-line block ×7, first 2 shown]
	ds_write_b128 v98, v[4:7]
	ds_write_b128 v96, v[8:11]
	v_fma_f64 v[4:5], v[72:73], 2.0, -v[68:69]
	v_fma_f64 v[6:7], v[74:75], 2.0, -v[70:71]
	;; [unrolled: 1-line block ×7, first 2 shown]
	v_lshl_add_u32 v56, v151, 5, 0
	v_lshl_add_u32 v16, v150, 5, 0
	ds_write_b128 v97, v[12:15]
	ds_write_b128 v56, v[88:91] offset:16
	ds_write_b128 v56, v[24:27]
	ds_write_b128 v16, v[28:31]
	ds_write_b128 v16, v[36:39] offset:16
	ds_write_b128 v204, v[20:23]
	ds_write_b128 v204, v[48:51] offset:16
	;; [unrolled: 2-line block ×6, first 2 shown]
	s_and_saveexec_b32 s1, s0
	s_cbranch_execz .LBB0_15
; %bb.14:
	v_lshl_add_u32 v4, v142, 5, 0
	ds_write_b128 v4, v[32:35]
	ds_write_b128 v4, v[0:3] offset:16
.LBB0_15:
	s_or_b32 exec_lo, exec_lo, s1
	v_lshlrev_b32_e32 v120, 4, v149
	v_lshlrev_b32_e32 v121, 4, v148
	;; [unrolled: 1-line block ×5, first 2 shown]
	v_lshl_add_u32 v200, v150, 4, 0
	v_sub_nc_u32_e32 v36, v204, v120
	v_lshl_add_u32 v202, v152, 4, 0
	v_sub_nc_u32_e32 v37, v154, v121
	;; [unrolled: 2-line block ×3, first 2 shown]
	v_sub_nc_u32_e32 v39, v199, v144
	v_sub_nc_u32_e32 v60, v156, v123
	s_waitcnt lgkmcnt(0)
	s_barrier
	buffer_gl0_inv
	ds_read_b128 v[8:11], v198
	ds_read_b128 v[4:7], v198 offset:8736
	v_lshl_add_u32 v203, v143, 4, 0
	ds_read_b128 v[20:23], v198 offset:9568
	ds_read_b128 v[12:15], v198 offset:10400
	ds_read_b128 v[24:27], v202
	ds_read_b128 v[16:19], v201
	ds_read_b128 v[28:31], v198 offset:11232
	ds_read_b128 v[64:67], v198 offset:12064
	ds_read_b128 v[56:59], v200
	ds_read_b128 v[52:55], v36
	;; [unrolled: 1-line block ×6, first 2 shown]
	ds_read_b128 v[84:87], v198 offset:12896
	ds_read_b128 v[80:83], v198 offset:13728
	;; [unrolled: 1-line block ×4, first 2 shown]
	ds_read_b128 v[60:63], v203
	ds_read_b128 v[72:75], v198 offset:16224
	v_lshlrev_b32_e32 v165, 1, v143
	v_lshlrev_b32_e32 v163, 1, v152
	;; [unrolled: 1-line block ×9, first 2 shown]
	v_lshl_add_u32 v139, v142, 4, 0
	s_and_saveexec_b32 s1, s0
	s_cbranch_execz .LBB0_17
; %bb.16:
	ds_read_b128 v[32:35], v139
	ds_read_b128 v[0:3], v198 offset:17056
.LBB0_17:
	s_or_b32 exec_lo, exec_lo, s1
	v_and_b32_e32 v91, 1, v136
	v_lshlrev_b32_e32 v153, 1, v136
	v_lshlrev_b32_e32 v92, 4, v91
	v_and_or_b32 v96, 0x7c, v153, v91
	v_and_or_b32 v97, 0xfc, v165, v91
	;; [unrolled: 1-line block ×4, first 2 shown]
	global_load_dwordx4 v[92:95], v92, s[8:9]
	v_and_or_b32 v100, 0x3fc, v159, v91
	v_and_or_b32 v101, 0x2fc, v157, v91
	;; [unrolled: 1-line block ×5, first 2 shown]
	v_lshl_add_u32 v160, v96, 4, 0
	v_lshl_add_u32 v162, v97, 4, 0
	;; [unrolled: 1-line block ×8, first 2 shown]
	v_and_or_b32 v90, 0x3fc, v90, v91
	s_waitcnt vmcnt(0) lgkmcnt(0)
	s_barrier
	buffer_gl0_inv
	v_lshl_add_u32 v90, v90, 4, 0
	v_mul_f64 v[88:89], v[6:7], v[94:95]
	v_mul_f64 v[96:97], v[4:5], v[94:95]
	;; [unrolled: 1-line block ×22, first 2 shown]
	v_fma_f64 v[4:5], v[4:5], v[92:93], -v[88:89]
	v_fma_f64 v[6:7], v[6:7], v[92:93], v[96:97]
	v_fma_f64 v[20:21], v[20:21], v[92:93], -v[98:99]
	v_fma_f64 v[22:23], v[22:23], v[92:93], v[100:101]
	;; [unrolled: 2-line block ×11, first 2 shown]
	v_add_f64 v[64:65], v[8:9], -v[4:5]
	v_add_f64 v[66:67], v[10:11], -v[6:7]
	;; [unrolled: 1-line block ×22, first 2 shown]
	v_fma_f64 v[92:93], v[8:9], 2.0, -v[64:65]
	v_fma_f64 v[94:95], v[10:11], 2.0, -v[66:67]
	;; [unrolled: 1-line block ×22, first 2 shown]
	v_lshl_add_u32 v36, v158, 4, 0
	ds_write_b128 v160, v[64:67] offset:32
	ds_write_b128 v160, v[92:95]
	ds_write_b128 v162, v[60:63]
	ds_write_b128 v162, v[68:71] offset:32
	ds_write_b128 v164, v[96:99]
	ds_write_b128 v164, v[72:75] offset:32
	;; [unrolled: 2-line block ×9, first 2 shown]
	s_and_saveexec_b32 s1, s0
	s_cbranch_execz .LBB0_19
; %bb.18:
	v_lshlrev_b32_e32 v36, 1, v142
	v_and_or_b32 v36, 0x47c, v36, v91
	v_lshl_add_u32 v36, v36, 4, 0
	ds_write_b128 v36, v[32:35]
	ds_write_b128 v36, v[28:31] offset:32
.LBB0_19:
	s_or_b32 exec_lo, exec_lo, s1
	s_waitcnt lgkmcnt(0)
	s_barrier
	buffer_gl0_inv
	ds_read_b128 v[104:107], v198
	ds_read_b128 v[84:87], v198 offset:1344
	ds_read_b128 v[80:83], v198 offset:2688
	;; [unrolled: 1-line block ×12, first 2 shown]
	v_cmp_gt_u32_e64 s1, 32, v136
                                        ; implicit-def: $vgpr50_vgpr51
                                        ; implicit-def: $vgpr38_vgpr39
                                        ; implicit-def: $vgpr46_vgpr47
                                        ; implicit-def: $vgpr42_vgpr43
	s_and_saveexec_b32 s4, s1
	s_cbranch_execz .LBB0_21
; %bb.20:
	ds_read_b128 v[0:3], v203
	ds_read_b128 v[8:11], v198 offset:2176
	ds_read_b128 v[4:7], v198 offset:3520
	;; [unrolled: 1-line block ×12, first 2 shown]
.LBB0_21:
	s_or_b32 exec_lo, exec_lo, s4
	v_and_b32_e32 v162, 3, v136
	v_sub_nc_u32_e32 v206, 0, v120
	v_sub_nc_u32_e32 v158, 0, v121
	;; [unrolled: 1-line block ×4, first 2 shown]
	v_mul_u32_u24_e32 v52, 12, v162
	s_mov_b32 s4, 0x4267c47c
	s_mov_b32 s16, 0x42a4c3d2
	;; [unrolled: 1-line block ×4, first 2 shown]
	v_lshlrev_b32_e32 v164, 4, v52
	s_mov_b32 s22, 0x24c2f84
	s_mov_b32 s28, 0x4bc48dbf
	;; [unrolled: 1-line block ×4, first 2 shown]
	s_clause 0x3
	global_load_dwordx4 v[60:63], v164, s[8:9] offset:80
	global_load_dwordx4 v[56:59], v164, s[8:9] offset:64
	;; [unrolled: 1-line block ×4, first 2 shown]
	s_mov_b32 s11, 0xbfefc445
	s_mov_b32 s21, 0xbfedeba7
	;; [unrolled: 1-line block ×28, first 2 shown]
	s_waitcnt vmcnt(0) lgkmcnt(11)
	v_mul_f64 v[120:121], v[86:87], v[66:67]
	v_fma_f64 v[180:181], v[84:85], v[64:65], -v[120:121]
	v_mul_f64 v[84:85], v[84:85], v[66:67]
	v_fma_f64 v[182:183], v[86:87], v[64:65], v[84:85]
	s_waitcnt lgkmcnt(10)
	v_mul_f64 v[84:85], v[82:83], v[54:55]
	v_fma_f64 v[178:179], v[80:81], v[52:53], -v[84:85]
	v_mul_f64 v[80:81], v[80:81], v[54:55]
	v_fma_f64 v[176:177], v[82:83], v[52:53], v[80:81]
	s_waitcnt lgkmcnt(9)
	;; [unrolled: 5-line block ×3, first 2 shown]
	v_mul_f64 v[76:77], v[74:75], v[62:63]
	v_fma_f64 v[168:169], v[72:73], v[60:61], -v[76:77]
	v_mul_f64 v[72:73], v[72:73], v[62:63]
	v_fma_f64 v[166:167], v[74:75], v[60:61], v[72:73]
	s_clause 0x3
	global_load_dwordx4 v[72:75], v164, s[8:9] offset:144
	global_load_dwordx4 v[76:79], v164, s[8:9] offset:128
	global_load_dwordx4 v[80:83], v164, s[8:9] offset:112
	global_load_dwordx4 v[84:87], v164, s[8:9] offset:96
	s_waitcnt vmcnt(0) lgkmcnt(7)
	v_mul_f64 v[120:121], v[98:99], v[86:87]
	v_fma_f64 v[132:133], v[96:97], v[84:85], -v[120:121]
	v_mul_f64 v[96:97], v[96:97], v[86:87]
	v_fma_f64 v[128:129], v[98:99], v[84:85], v[96:97]
	s_waitcnt lgkmcnt(6)
	v_mul_f64 v[96:97], v[94:95], v[82:83]
	v_fma_f64 v[124:125], v[92:93], v[80:81], -v[96:97]
	v_mul_f64 v[92:93], v[92:93], v[82:83]
	v_fma_f64 v[120:121], v[94:95], v[80:81], v[92:93]
	s_waitcnt lgkmcnt(5)
	;; [unrolled: 5-line block ×3, first 2 shown]
	v_mul_f64 v[88:89], v[70:71], v[74:75]
	v_fma_f64 v[134:135], v[68:69], v[72:73], -v[88:89]
	v_mul_f64 v[68:69], v[68:69], v[74:75]
	v_fma_f64 v[130:131], v[70:71], v[72:73], v[68:69]
	s_clause 0x3
	global_load_dwordx4 v[88:91], v164, s[8:9] offset:208
	global_load_dwordx4 v[68:71], v164, s[8:9] offset:192
	;; [unrolled: 1-line block ×4, first 2 shown]
	v_lshrrev_b32_e32 v164, 2, v136
	s_waitcnt vmcnt(0) lgkmcnt(0)
	s_barrier
	buffer_gl0_inv
	v_mul_u32_u24_e32 v164, 52, v164
	v_or_b32_e32 v164, v164, v162
	v_lshl_add_u32 v164, v164, 4, 0
	v_mul_f64 v[172:173], v[118:119], v[98:99]
	v_fma_f64 v[172:173], v[116:117], v[96:97], -v[172:173]
	v_mul_f64 v[116:117], v[116:117], v[98:99]
	v_fma_f64 v[116:117], v[118:119], v[96:97], v[116:117]
	v_mul_f64 v[118:119], v[114:115], v[94:95]
	v_fma_f64 v[118:119], v[112:113], v[92:93], -v[118:119]
	v_mul_f64 v[112:113], v[112:113], v[94:95]
	v_fma_f64 v[112:113], v[114:115], v[92:93], v[112:113]
	;; [unrolled: 4-line block ×3, first 2 shown]
	v_mul_f64 v[110:111], v[102:103], v[90:91]
	v_fma_f64 v[184:185], v[100:101], v[88:89], -v[110:111]
	v_mul_f64 v[100:101], v[100:101], v[90:91]
	v_add_f64 v[188:189], v[180:181], v[184:185]
	v_fma_f64 v[186:187], v[102:103], v[88:89], v[100:101]
	v_add_f64 v[100:101], v[104:105], v[180:181]
	v_add_f64 v[102:103], v[106:107], v[182:183]
	v_add_f64 v[190:191], v[180:181], -v[184:185]
	v_add_f64 v[192:193], v[182:183], -v[186:187]
	v_add_f64 v[100:101], v[100:101], v[178:179]
	v_add_f64 v[102:103], v[102:103], v[176:177]
	;; [unrolled: 1-line block ×3, first 2 shown]
	v_mul_f64 v[208:209], v[190:191], s[16:17]
	v_mul_f64 v[216:217], v[190:191], s[10:11]
	v_mul_f64 v[224:225], v[190:191], s[20:21]
	v_mul_f64 v[232:233], v[190:191], s[22:23]
	v_mul_f64 v[182:183], v[192:193], s[4:5]
	v_add_f64 v[100:101], v[100:101], v[174:175]
	v_add_f64 v[102:103], v[102:103], v[170:171]
	v_mul_f64 v[194:195], v[192:193], s[16:17]
	v_mul_f64 v[212:213], v[192:193], s[10:11]
	;; [unrolled: 1-line block ×5, first 2 shown]
	v_fma_f64 v[210:211], v[110:111], s[14:15], v[208:209]
	v_fma_f64 v[208:209], v[110:111], s[14:15], -v[208:209]
	v_fma_f64 v[218:219], v[110:111], s[12:13], v[216:217]
	v_fma_f64 v[216:217], v[110:111], s[12:13], -v[216:217]
	;; [unrolled: 2-line block ×4, first 2 shown]
	v_fma_f64 v[180:181], v[188:189], s[6:7], -v[182:183]
	v_add_f64 v[100:101], v[100:101], v[168:169]
	v_add_f64 v[102:103], v[102:103], v[166:167]
	v_fma_f64 v[182:183], v[188:189], s[6:7], v[182:183]
	v_fma_f64 v[196:197], v[188:189], s[14:15], -v[194:195]
	v_fma_f64 v[194:195], v[188:189], s[14:15], v[194:195]
	v_fma_f64 v[214:215], v[188:189], s[12:13], -v[212:213]
	;; [unrolled: 2-line block ×5, first 2 shown]
	v_fma_f64 v[188:189], v[188:189], s[26:27], v[192:193]
	v_add_f64 v[210:211], v[106:107], v[210:211]
	v_add_f64 v[208:209], v[106:107], v[208:209]
	;; [unrolled: 1-line block ×33, first 2 shown]
	v_mul_f64 v[184:185], v[190:191], s[4:5]
	v_mul_f64 v[190:191], v[190:191], s[28:29]
	v_add_f64 v[102:103], v[102:103], v[186:187]
	v_add_f64 v[186:187], v[104:105], v[180:181]
	;; [unrolled: 1-line block ×4, first 2 shown]
	v_add_f64 v[108:109], v[176:177], -v[108:109]
	v_fma_f64 v[180:181], v[110:111], s[6:7], v[184:185]
	v_fma_f64 v[184:185], v[110:111], s[6:7], -v[184:185]
	v_fma_f64 v[238:239], v[110:111], s[26:27], v[190:191]
	v_fma_f64 v[110:111], v[110:111], s[26:27], -v[190:191]
	v_mul_f64 v[176:177], v[108:109], s[16:17]
	v_add_f64 v[180:181], v[106:107], v[180:181]
	v_add_f64 v[184:185], v[106:107], v[184:185]
	;; [unrolled: 1-line block ×5, first 2 shown]
	v_add_f64 v[114:115], v[178:179], -v[114:115]
	v_fma_f64 v[178:179], v[110:111], s[14:15], -v[176:177]
	v_fma_f64 v[176:177], v[110:111], s[14:15], v[176:177]
	v_add_f64 v[178:179], v[178:179], v[186:187]
	v_mul_f64 v[186:187], v[114:115], s[16:17]
	v_add_f64 v[176:177], v[176:177], v[182:183]
	v_fma_f64 v[182:183], v[188:189], s[14:15], -v[186:187]
	v_fma_f64 v[190:191], v[188:189], s[14:15], v[186:187]
	v_add_f64 v[182:183], v[182:183], v[184:185]
	v_mul_f64 v[184:185], v[108:109], s[20:21]
	v_add_f64 v[180:181], v[190:191], v[180:181]
	v_mul_f64 v[190:191], v[114:115], s[20:21]
	v_fma_f64 v[186:187], v[110:111], s[18:19], -v[184:185]
	v_fma_f64 v[184:185], v[110:111], s[18:19], v[184:185]
	v_fma_f64 v[192:193], v[188:189], s[18:19], v[190:191]
	v_fma_f64 v[190:191], v[188:189], s[18:19], -v[190:191]
	v_add_f64 v[186:187], v[186:187], v[196:197]
	v_add_f64 v[184:185], v[184:185], v[194:195]
	v_mul_f64 v[194:195], v[108:109], s[28:29]
	v_add_f64 v[190:191], v[190:191], v[208:209]
	v_mul_f64 v[208:209], v[114:115], s[28:29]
	v_add_f64 v[192:193], v[192:193], v[210:211]
	v_fma_f64 v[196:197], v[110:111], s[26:27], -v[194:195]
	v_fma_f64 v[194:195], v[110:111], s[26:27], v[194:195]
	v_fma_f64 v[210:211], v[188:189], s[26:27], v[208:209]
	v_fma_f64 v[208:209], v[188:189], s[26:27], -v[208:209]
	v_add_f64 v[196:197], v[196:197], v[214:215]
	v_add_f64 v[194:195], v[194:195], v[212:213]
	v_mul_f64 v[212:213], v[108:109], s[30:31]
	v_add_f64 v[208:209], v[208:209], v[216:217]
	v_mul_f64 v[216:217], v[114:115], s[30:31]
	v_add_f64 v[210:211], v[210:211], v[218:219]
	v_fma_f64 v[214:215], v[110:111], s[24:25], -v[212:213]
	v_fma_f64 v[212:213], v[110:111], s[24:25], v[212:213]
	v_fma_f64 v[218:219], v[188:189], s[24:25], v[216:217]
	v_fma_f64 v[216:217], v[188:189], s[24:25], -v[216:217]
	v_add_f64 v[214:215], v[214:215], v[222:223]
	v_add_f64 v[212:213], v[212:213], v[220:221]
	v_mul_f64 v[220:221], v[108:109], s[36:37]
	v_mul_f64 v[108:109], v[108:109], s[34:35]
	v_add_f64 v[216:217], v[216:217], v[224:225]
	v_mul_f64 v[224:225], v[114:115], s[36:37]
	v_mul_f64 v[114:115], v[114:115], s[34:35]
	v_add_f64 v[218:219], v[218:219], v[226:227]
	v_fma_f64 v[222:223], v[110:111], s[12:13], -v[220:221]
	v_fma_f64 v[220:221], v[110:111], s[12:13], v[220:221]
	v_fma_f64 v[226:227], v[188:189], s[12:13], v[224:225]
	v_fma_f64 v[224:225], v[188:189], s[12:13], -v[224:225]
	v_add_f64 v[222:223], v[222:223], v[230:231]
	v_add_f64 v[220:221], v[220:221], v[228:229]
	v_fma_f64 v[228:229], v[110:111], s[6:7], -v[108:109]
	v_fma_f64 v[108:109], v[110:111], s[6:7], v[108:109]
	v_add_f64 v[110:111], v[170:171], v[112:113]
	v_add_f64 v[112:113], v[170:171], -v[112:113]
	v_fma_f64 v[230:231], v[188:189], s[6:7], v[114:115]
	v_add_f64 v[224:225], v[224:225], v[232:233]
	v_add_f64 v[226:227], v[226:227], v[234:235]
	v_add_f64 v[228:229], v[228:229], v[236:237]
	v_add_f64 v[104:105], v[108:109], v[104:105]
	v_fma_f64 v[108:109], v[188:189], s[6:7], -v[114:115]
	v_add_f64 v[114:115], v[174:175], -v[118:119]
	v_add_f64 v[230:231], v[230:231], v[238:239]
	v_add_f64 v[106:107], v[108:109], v[106:107]
	;; [unrolled: 1-line block ×3, first 2 shown]
	v_mul_f64 v[118:119], v[112:113], s[10:11]
	v_mul_f64 v[174:175], v[114:115], s[10:11]
	v_fma_f64 v[170:171], v[108:109], s[12:13], -v[118:119]
	v_fma_f64 v[118:119], v[108:109], s[12:13], v[118:119]
	v_add_f64 v[170:171], v[170:171], v[178:179]
	v_fma_f64 v[178:179], v[110:111], s[12:13], v[174:175]
	v_add_f64 v[118:119], v[118:119], v[176:177]
	v_mul_f64 v[176:177], v[112:113], s[28:29]
	v_fma_f64 v[174:175], v[110:111], s[12:13], -v[174:175]
	v_add_f64 v[178:179], v[178:179], v[180:181]
	v_fma_f64 v[180:181], v[108:109], s[26:27], -v[176:177]
	v_fma_f64 v[176:177], v[108:109], s[26:27], v[176:177]
	v_add_f64 v[174:175], v[174:175], v[182:183]
	v_mul_f64 v[182:183], v[114:115], s[28:29]
	v_add_f64 v[180:181], v[180:181], v[186:187]
	v_add_f64 v[176:177], v[176:177], v[184:185]
	v_mul_f64 v[184:185], v[112:113], s[38:39]
	v_fma_f64 v[186:187], v[110:111], s[26:27], v[182:183]
	v_fma_f64 v[182:183], v[110:111], s[26:27], -v[182:183]
	v_fma_f64 v[188:189], v[108:109], s[18:19], -v[184:185]
	v_fma_f64 v[184:185], v[108:109], s[18:19], v[184:185]
	v_add_f64 v[182:183], v[182:183], v[190:191]
	v_mul_f64 v[190:191], v[114:115], s[38:39]
	v_add_f64 v[186:187], v[186:187], v[192:193]
	v_add_f64 v[188:189], v[188:189], v[196:197]
	;; [unrolled: 1-line block ×3, first 2 shown]
	v_mul_f64 v[194:195], v[112:113], s[34:35]
	v_fma_f64 v[192:193], v[110:111], s[18:19], v[190:191]
	v_fma_f64 v[190:191], v[110:111], s[18:19], -v[190:191]
	v_fma_f64 v[196:197], v[108:109], s[6:7], -v[194:195]
	v_fma_f64 v[194:195], v[108:109], s[6:7], v[194:195]
	v_add_f64 v[190:191], v[190:191], v[208:209]
	v_mul_f64 v[208:209], v[114:115], s[34:35]
	v_add_f64 v[192:193], v[192:193], v[210:211]
	v_add_f64 v[196:197], v[196:197], v[214:215]
	;; [unrolled: 1-line block ×3, first 2 shown]
	v_mul_f64 v[212:213], v[112:113], s[16:17]
	v_fma_f64 v[210:211], v[110:111], s[6:7], v[208:209]
	v_fma_f64 v[208:209], v[110:111], s[6:7], -v[208:209]
	v_mul_f64 v[112:113], v[112:113], s[22:23]
	v_fma_f64 v[214:215], v[108:109], s[14:15], -v[212:213]
	v_fma_f64 v[212:213], v[108:109], s[14:15], v[212:213]
	v_add_f64 v[208:209], v[208:209], v[216:217]
	v_mul_f64 v[216:217], v[114:115], s[16:17]
	v_mul_f64 v[114:115], v[114:115], s[22:23]
	v_add_f64 v[210:211], v[210:211], v[218:219]
	v_add_f64 v[214:215], v[214:215], v[222:223]
	;; [unrolled: 1-line block ×3, first 2 shown]
	v_fma_f64 v[220:221], v[108:109], s[24:25], -v[112:113]
	v_fma_f64 v[108:109], v[108:109], s[24:25], v[112:113]
	v_fma_f64 v[222:223], v[110:111], s[24:25], v[114:115]
	;; [unrolled: 1-line block ×3, first 2 shown]
	v_fma_f64 v[216:217], v[110:111], s[14:15], -v[216:217]
	v_add_f64 v[112:113], v[168:169], -v[172:173]
	v_add_f64 v[220:221], v[220:221], v[228:229]
	v_add_f64 v[104:105], v[108:109], v[104:105]
	v_fma_f64 v[108:109], v[110:111], s[24:25], -v[114:115]
	v_add_f64 v[114:115], v[166:167], -v[116:117]
	v_add_f64 v[110:111], v[166:167], v[116:117]
	v_add_f64 v[216:217], v[216:217], v[224:225]
	v_add_f64 v[218:219], v[218:219], v[226:227]
	v_add_f64 v[226:227], v[128:129], -v[130:131]
	v_add_f64 v[224:225], v[132:133], -v[134:135]
	v_add_f64 v[222:223], v[222:223], v[230:231]
	v_add_f64 v[106:107], v[108:109], v[106:107]
	;; [unrolled: 1-line block ×3, first 2 shown]
	v_mul_f64 v[116:117], v[114:115], s[20:21]
	v_mul_f64 v[168:169], v[112:113], s[20:21]
	v_fma_f64 v[166:167], v[108:109], s[18:19], -v[116:117]
	v_fma_f64 v[116:117], v[108:109], s[18:19], v[116:117]
	v_add_f64 v[166:167], v[166:167], v[170:171]
	v_add_f64 v[116:117], v[116:117], v[118:119]
	v_fma_f64 v[118:119], v[110:111], s[18:19], -v[168:169]
	v_fma_f64 v[170:171], v[110:111], s[18:19], v[168:169]
	v_mul_f64 v[168:169], v[114:115], s[30:31]
	v_add_f64 v[118:119], v[118:119], v[174:175]
	v_mul_f64 v[174:175], v[112:113], s[30:31]
	v_add_f64 v[170:171], v[170:171], v[178:179]
	v_fma_f64 v[172:173], v[108:109], s[24:25], -v[168:169]
	v_fma_f64 v[168:169], v[108:109], s[24:25], v[168:169]
	v_fma_f64 v[178:179], v[110:111], s[24:25], v[174:175]
	v_fma_f64 v[174:175], v[110:111], s[24:25], -v[174:175]
	v_add_f64 v[172:173], v[172:173], v[180:181]
	v_add_f64 v[168:169], v[168:169], v[176:177]
	v_mul_f64 v[176:177], v[114:115], s[34:35]
	v_add_f64 v[178:179], v[178:179], v[186:187]
	v_add_f64 v[174:175], v[174:175], v[182:183]
	v_mul_f64 v[182:183], v[112:113], s[34:35]
	v_fma_f64 v[180:181], v[108:109], s[6:7], -v[176:177]
	v_fma_f64 v[176:177], v[108:109], s[6:7], v[176:177]
	v_fma_f64 v[186:187], v[110:111], s[6:7], v[182:183]
	v_fma_f64 v[182:183], v[110:111], s[6:7], -v[182:183]
	v_add_f64 v[180:181], v[180:181], v[188:189]
	v_add_f64 v[176:177], v[176:177], v[184:185]
	v_mul_f64 v[184:185], v[114:115], s[10:11]
	v_add_f64 v[186:187], v[186:187], v[192:193]
	v_add_f64 v[182:183], v[182:183], v[190:191]
	v_mul_f64 v[190:191], v[112:113], s[10:11]
	v_fma_f64 v[188:189], v[108:109], s[12:13], -v[184:185]
	v_fma_f64 v[184:185], v[108:109], s[12:13], v[184:185]
	v_fma_f64 v[192:193], v[110:111], s[12:13], v[190:191]
	v_fma_f64 v[190:191], v[110:111], s[12:13], -v[190:191]
	v_add_f64 v[188:189], v[188:189], v[196:197]
	v_add_f64 v[184:185], v[184:185], v[194:195]
	;; [unrolled: 1-line block ×4, first 2 shown]
	v_mul_f64 v[190:191], v[114:115], s[40:41]
	v_mul_f64 v[114:115], v[114:115], s[42:43]
	v_fma_f64 v[192:193], v[108:109], s[26:27], -v[190:191]
	v_fma_f64 v[190:191], v[108:109], s[26:27], v[190:191]
	v_add_f64 v[214:215], v[192:193], v[214:215]
	v_mul_f64 v[192:193], v[112:113], s[40:41]
	v_add_f64 v[212:213], v[190:191], v[212:213]
	v_mul_f64 v[112:113], v[112:113], s[42:43]
	v_fma_f64 v[190:191], v[110:111], s[26:27], -v[192:193]
	v_fma_f64 v[194:195], v[110:111], s[26:27], v[192:193]
	v_add_f64 v[216:217], v[190:191], v[216:217]
	v_fma_f64 v[190:191], v[108:109], s[14:15], -v[114:115]
	v_fma_f64 v[108:109], v[108:109], s[14:15], v[114:115]
	v_add_f64 v[218:219], v[194:195], v[218:219]
	v_add_f64 v[220:221], v[190:191], v[220:221]
	;; [unrolled: 1-line block ×3, first 2 shown]
	v_fma_f64 v[108:109], v[110:111], s[14:15], -v[112:113]
	v_fma_f64 v[190:191], v[110:111], s[14:15], v[112:113]
	v_mul_f64 v[112:113], v[226:227], s[22:23]
	v_add_f64 v[110:111], v[128:129], v[130:131]
	v_add_f64 v[106:107], v[108:109], v[106:107]
	v_add_f64 v[108:109], v[132:133], v[134:135]
	v_add_f64 v[222:223], v[190:191], v[222:223]
	v_mul_f64 v[134:135], v[224:225], s[40:41]
	v_fma_f64 v[114:115], v[108:109], s[24:25], -v[112:113]
	v_fma_f64 v[112:113], v[108:109], s[24:25], v[112:113]
	v_add_f64 v[228:229], v[114:115], v[166:167]
	v_mul_f64 v[114:115], v[224:225], s[22:23]
	v_add_f64 v[116:117], v[112:113], v[116:117]
	v_mul_f64 v[166:167], v[226:227], s[34:35]
	v_fma_f64 v[112:113], v[110:111], s[24:25], -v[114:115]
	v_fma_f64 v[128:129], v[110:111], s[24:25], v[114:115]
	v_add_f64 v[118:119], v[112:113], v[118:119]
	v_mul_f64 v[112:113], v[226:227], s[36:37]
	v_add_f64 v[230:231], v[128:129], v[170:171]
	v_fma_f64 v[114:115], v[108:109], s[12:13], -v[112:113]
	v_fma_f64 v[112:113], v[108:109], s[12:13], v[112:113]
	v_add_f64 v[232:233], v[114:115], v[172:173]
	v_mul_f64 v[114:115], v[224:225], s[36:37]
	v_add_f64 v[112:113], v[112:113], v[168:169]
	v_fma_f64 v[168:169], v[108:109], s[6:7], -v[166:167]
	v_fma_f64 v[166:167], v[108:109], s[6:7], v[166:167]
	v_add_f64 v[172:173], v[124:125], v[126:127]
	v_fma_f64 v[128:129], v[110:111], s[12:13], v[114:115]
	v_fma_f64 v[114:115], v[110:111], s[12:13], -v[114:115]
	v_add_f64 v[234:235], v[128:129], v[178:179]
	v_mul_f64 v[128:129], v[226:227], s[16:17]
	v_add_f64 v[114:115], v[114:115], v[174:175]
	v_fma_f64 v[130:131], v[108:109], s[14:15], -v[128:129]
	v_fma_f64 v[128:129], v[108:109], s[14:15], v[128:129]
	v_add_f64 v[194:195], v[130:131], v[180:181]
	v_mul_f64 v[130:131], v[224:225], s[16:17]
	v_add_f64 v[192:193], v[128:129], v[176:177]
	v_add_f64 v[176:177], v[124:125], -v[126:127]
	v_fma_f64 v[132:133], v[110:111], s[14:15], v[130:131]
	v_fma_f64 v[128:129], v[110:111], s[14:15], -v[130:131]
	v_fma_f64 v[130:131], v[110:111], s[26:27], v[134:135]
	v_fma_f64 v[134:135], v[110:111], s[26:27], -v[134:135]
	v_mul_f64 v[126:127], v[176:177], s[22:23]
	v_add_f64 v[196:197], v[132:133], v[186:187]
	v_mul_f64 v[132:133], v[226:227], s[40:41]
	v_add_f64 v[190:191], v[128:129], v[182:183]
	v_add_f64 v[182:183], v[166:167], v[212:213]
	;; [unrolled: 1-line block ×4, first 2 shown]
	v_fma_f64 v[128:129], v[108:109], s[26:27], -v[132:133]
	v_fma_f64 v[132:133], v[108:109], s[26:27], v[132:133]
	v_add_f64 v[128:129], v[128:129], v[188:189]
	v_add_f64 v[132:133], v[132:133], v[184:185]
	;; [unrolled: 1-line block ×3, first 2 shown]
	v_mul_f64 v[168:169], v[224:225], s[34:35]
	v_add_f64 v[188:189], v[120:121], -v[122:123]
	v_fma_f64 v[166:167], v[110:111], s[6:7], -v[168:169]
	v_fma_f64 v[170:171], v[110:111], s[6:7], v[168:169]
	v_mul_f64 v[124:125], v[188:189], s[22:23]
	v_add_f64 v[180:181], v[166:167], v[216:217]
	v_mul_f64 v[166:167], v[226:227], s[20:21]
	v_add_f64 v[186:187], v[170:171], v[218:219]
	v_fma_f64 v[168:169], v[108:109], s[18:19], -v[166:167]
	v_fma_f64 v[108:109], v[108:109], s[18:19], v[166:167]
	v_add_f64 v[178:179], v[168:169], v[220:221]
	v_mul_f64 v[168:169], v[224:225], s[20:21]
	v_fma_f64 v[170:171], v[110:111], s[18:19], v[168:169]
	v_add_f64 v[174:175], v[170:171], v[222:223]
	v_add_f64 v[170:171], v[108:109], v[104:105]
	v_fma_f64 v[104:105], v[110:111], s[18:19], -v[168:169]
	v_mul_f64 v[108:109], v[188:189], s[28:29]
	v_add_f64 v[168:169], v[120:121], v[122:123]
	v_mul_f64 v[110:111], v[176:177], s[28:29]
	v_mul_f64 v[120:121], v[188:189], s[34:35]
	;; [unrolled: 1-line block ×3, first 2 shown]
	v_add_f64 v[166:167], v[104:105], v[106:107]
	v_fma_f64 v[104:105], v[172:173], s[26:27], -v[108:109]
	v_fma_f64 v[108:109], v[172:173], s[26:27], v[108:109]
	v_fma_f64 v[106:107], v[168:169], s[26:27], v[110:111]
	v_fma_f64 v[110:111], v[168:169], s[26:27], -v[110:111]
	v_add_f64 v[104:105], v[104:105], v[228:229]
	v_add_f64 v[108:109], v[108:109], v[116:117]
	v_fma_f64 v[116:117], v[172:173], s[6:7], -v[120:121]
	v_fma_f64 v[120:121], v[172:173], s[6:7], v[120:121]
	v_add_f64 v[110:111], v[110:111], v[118:119]
	v_fma_f64 v[118:119], v[168:169], s[6:7], v[122:123]
	v_add_f64 v[106:107], v[106:107], v[230:231]
	v_add_f64 v[116:117], v[116:117], v[232:233]
	;; [unrolled: 1-line block ×3, first 2 shown]
	v_fma_f64 v[120:121], v[168:169], s[6:7], -v[122:123]
	v_fma_f64 v[122:123], v[168:169], s[24:25], v[126:127]
	v_fma_f64 v[126:127], v[168:169], s[24:25], -v[126:127]
	v_add_f64 v[118:119], v[118:119], v[234:235]
	v_add_f64 v[114:115], v[120:121], v[114:115]
	v_fma_f64 v[120:121], v[172:173], s[24:25], -v[124:125]
	v_fma_f64 v[124:125], v[172:173], s[24:25], v[124:125]
	v_add_f64 v[126:127], v[126:127], v[190:191]
	v_mul_f64 v[190:191], v[188:189], s[42:43]
	v_add_f64 v[122:123], v[122:123], v[196:197]
	v_add_f64 v[120:121], v[120:121], v[194:195]
	;; [unrolled: 1-line block ×3, first 2 shown]
	v_fma_f64 v[192:193], v[172:173], s[14:15], -v[190:191]
	v_fma_f64 v[190:191], v[172:173], s[14:15], v[190:191]
	v_add_f64 v[128:129], v[192:193], v[128:129]
	v_mul_f64 v[192:193], v[176:177], s[42:43]
	v_add_f64 v[132:133], v[190:191], v[132:133]
	v_fma_f64 v[190:191], v[168:169], s[14:15], -v[192:193]
	v_fma_f64 v[194:195], v[168:169], s[14:15], v[192:193]
	v_add_f64 v[134:135], v[190:191], v[134:135]
	v_mul_f64 v[190:191], v[188:189], s[20:21]
	v_add_f64 v[130:131], v[194:195], v[130:131]
	;; [unrolled: 5-line block ×3, first 2 shown]
	v_mul_f64 v[176:177], v[176:177], s[36:37]
	v_fma_f64 v[182:183], v[168:169], s[18:19], -v[192:193]
	v_fma_f64 v[194:195], v[168:169], s[18:19], v[192:193]
	v_add_f64 v[192:193], v[182:183], v[180:181]
	v_mul_f64 v[182:183], v[188:189], s[36:37]
	v_add_f64 v[186:187], v[194:195], v[186:187]
	v_fma_f64 v[180:181], v[172:173], s[12:13], -v[182:183]
	v_fma_f64 v[172:173], v[172:173], s[12:13], v[182:183]
	v_add_f64 v[178:179], v[180:181], v[178:179]
	v_fma_f64 v[180:181], v[168:169], s[12:13], v[176:177]
	v_fma_f64 v[168:169], v[168:169], s[12:13], -v[176:177]
	v_add_f64 v[170:171], v[172:173], v[170:171]
	v_add_f64 v[180:181], v[180:181], v[174:175]
	;; [unrolled: 1-line block ×3, first 2 shown]
	ds_write_b128 v164, v[100:103]
	ds_write_b128 v164, v[104:107] offset:64
	ds_write_b128 v164, v[116:119] offset:128
	;; [unrolled: 1-line block ×12, first 2 shown]
	s_and_saveexec_b32 s33, s1
	s_cbranch_execz .LBB0_23
; %bb.22:
	v_mul_f64 v[100:101], v[20:21], v[82:83]
	v_mul_f64 v[102:103], v[8:9], v[66:67]
	;; [unrolled: 1-line block ×22, first 2 shown]
	v_fma_f64 v[58:59], v[22:23], v[80:81], v[100:101]
	v_fma_f64 v[100:101], v[10:11], v[64:65], v[102:103]
	;; [unrolled: 1-line block ×4, first 2 shown]
	v_mul_f64 v[102:103], v[6:7], v[54:55]
	v_mul_f64 v[70:71], v[38:39], v[70:71]
	v_fma_f64 v[50:51], v[20:21], v[80:81], -v[82:83]
	v_fma_f64 v[32:33], v[32:33], v[76:77], -v[78:79]
	;; [unrolled: 1-line block ×3, first 2 shown]
	v_fma_f64 v[66:67], v[14:15], v[60:61], v[112:113]
	v_fma_f64 v[20:21], v[42:43], v[96:97], v[114:115]
	v_fma_f64 v[60:61], v[12:13], v[60:61], -v[116:117]
	v_fma_f64 v[22:23], v[40:41], v[96:97], -v[98:99]
	v_fma_f64 v[86:87], v[6:7], v[52:53], v[122:123]
	v_fma_f64 v[12:13], v[38:39], v[68:69], v[124:125]
	;; [unrolled: 1-line block ×3, first 2 shown]
	v_fma_f64 v[96:97], v[8:9], v[64:65], -v[128:129]
	v_fma_f64 v[6:7], v[48:49], v[88:89], -v[90:91]
	v_fma_f64 v[26:27], v[30:31], v[72:73], v[110:111]
	v_fma_f64 v[24:25], v[28:29], v[72:73], -v[74:75]
	v_fma_f64 v[80:81], v[18:19], v[56:57], v[118:119]
	v_fma_f64 v[14:15], v[46:47], v[92:93], v[120:121]
	v_fma_f64 v[82:83], v[16:17], v[56:57], -v[126:127]
	v_fma_f64 v[8:9], v[44:45], v[92:93], -v[94:95]
	v_add_f64 v[48:49], v[100:101], v[10:11]
	v_add_f64 v[76:77], v[100:101], -v[10:11]
	v_fma_f64 v[94:95], v[4:5], v[52:53], -v[102:103]
	v_fma_f64 v[16:17], v[36:37], v[68:69], -v[70:71]
	v_add_f64 v[112:113], v[2:3], v[100:101]
	v_add_f64 v[28:29], v[58:59], v[34:35]
	v_add_f64 v[68:69], v[58:59], -v[34:35]
	v_add_f64 v[4:5], v[50:51], -v[32:33]
	v_add_f64 v[42:43], v[66:67], v[20:21]
	v_add_f64 v[88:89], v[66:67], -v[20:21]
	v_add_f64 v[30:31], v[60:61], -v[22:23]
	v_add_f64 v[74:75], v[60:61], v[22:23]
	v_add_f64 v[72:73], v[86:87], v[12:13]
	v_add_f64 v[70:71], v[86:87], -v[12:13]
	v_add_f64 v[114:115], v[0:1], v[96:97]
	v_add_f64 v[64:65], v[96:97], -v[6:7]
	v_add_f64 v[56:57], v[96:97], v[6:7]
	v_add_f64 v[36:37], v[54:55], v[26:27]
	v_add_f64 v[78:79], v[54:55], -v[26:27]
	v_add_f64 v[52:53], v[80:81], v[14:15]
	v_add_f64 v[92:93], v[80:81], -v[14:15]
	v_add_f64 v[38:39], v[82:83], -v[8:9]
	v_mul_f64 v[98:99], v[48:49], s[26:27]
	v_mul_f64 v[102:103], v[76:77], s[28:29]
	;; [unrolled: 1-line block ×4, first 2 shown]
	v_add_f64 v[44:45], v[94:95], -v[16:17]
	v_add_f64 v[90:91], v[94:95], v[16:17]
	v_add_f64 v[84:85], v[82:83], v[8:9]
	v_add_f64 v[18:19], v[62:63], -v[24:25]
	v_mul_f64 v[128:129], v[42:43], s[14:15]
	v_mul_f64 v[166:167], v[88:89], s[42:43]
	;; [unrolled: 1-line block ×8, first 2 shown]
	v_add_f64 v[46:47], v[62:63], v[24:25]
	v_mul_f64 v[126:127], v[36:37], s[18:19]
	v_mul_f64 v[134:135], v[78:79], s[20:21]
	;; [unrolled: 1-line block ×5, first 2 shown]
	v_fma_f64 v[118:119], v[64:65], s[40:41], v[98:99]
	v_fma_f64 v[120:121], v[56:57], s[26:27], v[102:103]
	;; [unrolled: 1-line block ×3, first 2 shown]
	v_fma_f64 v[102:103], v[56:57], s[26:27], -v[102:103]
	v_fma_f64 v[122:123], v[64:65], s[30:31], v[104:105]
	v_fma_f64 v[124:125], v[56:57], s[24:25], v[106:107]
	v_mul_f64 v[172:173], v[92:93], s[16:17]
	v_fma_f64 v[104:105], v[64:65], s[22:23], v[104:105]
	v_mul_f64 v[184:185], v[36:37], s[6:7]
	v_mul_f64 v[190:191], v[78:79], s[34:35]
	v_fma_f64 v[220:221], v[30:31], s[16:17], v[128:129]
	v_fma_f64 v[222:223], v[74:75], s[14:15], v[166:167]
	;; [unrolled: 1-line block ×5, first 2 shown]
	v_fma_f64 v[110:111], v[90:91], s[6:7], -v[110:111]
	v_fma_f64 v[178:179], v[44:45], s[10:11], v[96:97]
	v_fma_f64 v[180:181], v[90:91], s[12:13], v[100:101]
	;; [unrolled: 1-line block ×6, first 2 shown]
	v_add_f64 v[118:119], v[2:3], v[118:119]
	v_add_f64 v[120:121], v[0:1], v[120:121]
	;; [unrolled: 1-line block ×6, first 2 shown]
	v_fma_f64 v[168:169], v[84:85], s[24:25], -v[168:169]
	v_fma_f64 v[212:213], v[38:39], s[42:43], v[170:171]
	v_fma_f64 v[214:215], v[84:85], s[14:15], v[172:173]
	v_add_f64 v[104:105], v[2:3], v[104:105]
	v_fma_f64 v[128:129], v[30:31], s[42:43], v[128:129]
	v_fma_f64 v[166:167], v[74:75], s[14:15], -v[166:167]
	v_fma_f64 v[224:225], v[30:31], s[28:29], v[186:187]
	v_fma_f64 v[226:227], v[74:75], s[26:27], v[192:193]
	;; [unrolled: 1-line block ×3, first 2 shown]
	v_fma_f64 v[106:107], v[56:57], s[24:25], -v[106:107]
	v_add_f64 v[40:41], v[50:51], v[32:33]
	v_mul_f64 v[116:117], v[28:29], s[12:13]
	v_mul_f64 v[132:133], v[68:69], s[36:37]
	;; [unrolled: 1-line block ×5, first 2 shown]
	v_add_f64 v[118:119], v[174:175], v[118:119]
	v_add_f64 v[120:121], v[176:177], v[120:121]
	;; [unrolled: 1-line block ×6, first 2 shown]
	v_mul_f64 v[124:125], v[48:49], s[18:19]
	v_mul_f64 v[122:123], v[72:73], s[24:25]
	;; [unrolled: 1-line block ×3, first 2 shown]
	v_add_f64 v[96:97], v[96:97], v[104:105]
	v_mul_f64 v[178:179], v[70:71], s[30:31]
	v_mul_f64 v[218:219], v[72:73], s[26:27]
	v_fma_f64 v[228:229], v[46:47], s[18:19], v[134:135]
	v_fma_f64 v[134:135], v[46:47], s[18:19], -v[134:135]
	v_fma_f64 v[230:231], v[18:19], s[4:5], v[184:185]
	v_fma_f64 v[232:233], v[46:47], s[6:7], v[190:191]
	;; [unrolled: 1-line block ×3, first 2 shown]
	v_fma_f64 v[100:101], v[90:91], s[12:13], -v[100:101]
	v_add_f64 v[106:107], v[0:1], v[106:107]
	v_add_f64 v[86:87], v[112:113], v[86:87]
	;; [unrolled: 1-line block ×3, first 2 shown]
	v_mul_f64 v[194:195], v[42:43], s[12:13]
	v_add_f64 v[104:105], v[208:209], v[118:119]
	v_add_f64 v[118:119], v[210:211], v[120:121]
	;; [unrolled: 1-line block ×6, first 2 shown]
	v_mul_f64 v[120:121], v[48:49], s[12:13]
	v_mul_f64 v[208:209], v[76:77], s[10:11]
	v_fma_f64 v[234:235], v[64:65], s[38:39], v[124:125]
	v_mul_f64 v[168:169], v[70:71], s[28:29]
	v_fma_f64 v[212:213], v[18:19], s[38:39], v[126:127]
	v_fma_f64 v[126:127], v[18:19], s[20:21], v[126:127]
	v_add_f64 v[96:97], v[170:171], v[96:97]
	v_fma_f64 v[124:125], v[64:65], s[20:21], v[124:125]
	v_mul_f64 v[176:177], v[92:93], s[34:35]
	v_mul_f64 v[216:217], v[52:53], s[18:19]
	;; [unrolled: 1-line block ×3, first 2 shown]
	v_fma_f64 v[210:211], v[4:5], s[10:11], v[116:117]
	v_fma_f64 v[214:215], v[40:41], s[12:13], v[132:133]
	;; [unrolled: 1-line block ×3, first 2 shown]
	v_fma_f64 v[132:133], v[40:41], s[12:13], -v[132:133]
	v_fma_f64 v[170:171], v[40:41], s[18:19], v[188:189]
	v_add_f64 v[104:105], v[220:221], v[104:105]
	v_add_f64 v[118:119], v[222:223], v[118:119]
	;; [unrolled: 1-line block ×6, first 2 shown]
	v_fma_f64 v[128:129], v[56:57], s[18:19], v[180:181]
	v_fma_f64 v[220:221], v[44:45], s[22:23], v[122:123]
	v_fma_f64 v[180:181], v[56:57], s[18:19], -v[180:181]
	v_fma_f64 v[222:223], v[64:65], s[36:37], v[120:121]
	v_fma_f64 v[224:225], v[56:57], s[12:13], v[208:209]
	v_add_f64 v[226:227], v[2:3], v[234:235]
	v_fma_f64 v[166:167], v[4:5], s[38:39], v[182:183]
	v_fma_f64 v[184:185], v[18:19], s[34:35], v[184:185]
	v_fma_f64 v[172:173], v[84:85], s[14:15], -v[172:173]
	v_add_f64 v[96:97], v[186:187], v[96:97]
	v_fma_f64 v[186:187], v[90:91], s[24:25], v[178:179]
	v_fma_f64 v[122:123], v[44:45], s[30:31], v[122:123]
	v_fma_f64 v[178:179], v[90:91], s[24:25], -v[178:179]
	v_add_f64 v[124:125], v[2:3], v[124:125]
	v_add_f64 v[80:81], v[86:87], v[80:81]
	;; [unrolled: 1-line block ×11, first 2 shown]
	v_fma_f64 v[228:229], v[38:39], s[4:5], v[196:197]
	v_fma_f64 v[230:231], v[44:45], s[40:41], v[218:219]
	;; [unrolled: 1-line block ×3, first 2 shown]
	v_add_f64 v[180:181], v[0:1], v[180:181]
	v_add_f64 v[222:223], v[2:3], v[222:223]
	;; [unrolled: 1-line block ×4, first 2 shown]
	v_mul_f64 v[174:175], v[88:89], s[10:11]
	v_fma_f64 v[192:193], v[74:75], s[26:27], -v[192:193]
	v_add_f64 v[184:185], v[184:185], v[96:97]
	v_fma_f64 v[120:121], v[64:65], s[10:11], v[120:121]
	v_add_f64 v[122:123], v[122:123], v[124:125]
	v_fma_f64 v[124:125], v[84:85], s[6:7], -v[176:177]
	v_add_f64 v[66:67], v[80:81], v[66:67]
	v_add_f64 v[98:99], v[210:211], v[104:105]
	;; [unrolled: 1-line block ×7, first 2 shown]
	v_fma_f64 v[108:109], v[84:85], s[6:7], v[176:177]
	v_add_f64 v[110:111], v[186:187], v[128:129]
	v_add_f64 v[116:117], v[172:173], v[212:213]
	v_fma_f64 v[118:119], v[38:39], s[34:35], v[196:197]
	v_mul_f64 v[128:129], v[36:37], s[26:27]
	v_add_f64 v[126:127], v[178:179], v[180:181]
	v_fma_f64 v[132:133], v[30:31], s[36:37], v[194:195]
	v_mul_f64 v[134:135], v[42:43], s[6:7]
	v_fma_f64 v[166:167], v[38:39], s[20:21], v[216:217]
	v_add_f64 v[170:171], v[230:231], v[222:223]
	v_add_f64 v[172:173], v[228:229], v[220:221]
	v_mul_f64 v[178:179], v[88:89], s[34:35]
	v_fma_f64 v[180:181], v[84:85], s[18:19], v[130:131]
	v_add_f64 v[186:187], v[232:233], v[224:225]
	v_add_f64 v[60:61], v[82:83], v[60:61]
	v_fma_f64 v[112:113], v[40:41], s[18:19], -v[188:189]
	v_fma_f64 v[114:115], v[46:47], s[6:7], -v[190:191]
	v_mul_f64 v[176:177], v[78:79], s[40:41]
	v_fma_f64 v[188:189], v[74:75], s[12:13], v[174:175]
	v_fma_f64 v[94:95], v[30:31], s[10:11], v[194:195]
	v_add_f64 v[120:121], v[2:3], v[120:121]
	v_mul_f64 v[190:191], v[36:37], s[14:15]
	v_add_f64 v[54:55], v[66:67], v[54:55]
	v_add_f64 v[108:109], v[108:109], v[110:111]
	;; [unrolled: 1-line block ×3, first 2 shown]
	v_fma_f64 v[116:117], v[44:45], s[28:29], v[218:219]
	v_add_f64 v[118:119], v[118:119], v[122:123]
	v_fma_f64 v[122:123], v[74:75], s[12:13], -v[174:175]
	v_add_f64 v[124:125], v[124:125], v[126:127]
	v_fma_f64 v[126:127], v[18:19], s[28:29], v[128:129]
	v_fma_f64 v[174:175], v[56:57], s[12:13], -v[208:209]
	v_fma_f64 v[192:193], v[30:31], s[4:5], v[134:135]
	v_add_f64 v[166:167], v[166:167], v[170:171]
	v_add_f64 v[132:133], v[132:133], v[172:173]
	v_mul_f64 v[172:173], v[78:79], s[16:17]
	v_fma_f64 v[194:195], v[74:75], s[6:7], v[178:179]
	v_add_f64 v[180:181], v[180:181], v[186:187]
	v_add_f64 v[60:61], v[60:61], v[62:63]
	v_mul_f64 v[170:171], v[68:69], s[42:43]
	v_fma_f64 v[186:187], v[46:47], s[26:27], v[176:177]
	v_fma_f64 v[82:83], v[18:19], s[40:41], v[128:129]
	v_mul_f64 v[62:63], v[76:77], s[4:5]
	v_mul_f64 v[76:77], v[76:77], s[16:17]
	v_fma_f64 v[66:67], v[30:31], s[34:35], v[134:135]
	v_add_f64 v[54:55], v[54:55], v[58:59]
	v_add_f64 v[108:109], v[188:189], v[108:109]
	;; [unrolled: 1-line block ×3, first 2 shown]
	v_fma_f64 v[114:115], v[38:39], s[38:39], v[216:217]
	v_add_f64 v[116:117], v[116:117], v[120:121]
	v_add_f64 v[94:95], v[94:95], v[118:119]
	v_fma_f64 v[118:119], v[46:47], s[26:27], -v[176:177]
	v_add_f64 v[120:121], v[122:123], v[124:125]
	v_fma_f64 v[122:123], v[90:91], s[26:27], -v[168:169]
	v_add_f64 v[124:125], v[0:1], v[174:175]
	v_fma_f64 v[168:169], v[18:19], s[42:43], v[190:191]
	v_add_f64 v[166:167], v[192:193], v[166:167]
	v_add_f64 v[126:127], v[126:127], v[132:133]
	v_mul_f64 v[132:133], v[48:49], s[14:15]
	v_fma_f64 v[176:177], v[46:47], s[14:15], v[172:173]
	v_add_f64 v[180:181], v[194:195], v[180:181]
	v_mul_f64 v[48:49], v[48:49], s[6:7]
	v_add_f64 v[50:51], v[60:61], v[50:51]
	v_fma_f64 v[188:189], v[40:41], s[14:15], v[170:171]
	v_mul_f64 v[134:135], v[72:73], s[18:19]
	v_mul_f64 v[72:73], v[72:73], s[14:15]
	;; [unrolled: 1-line block ×3, first 2 shown]
	v_fma_f64 v[60:61], v[56:57], s[6:7], -v[62:63]
	v_add_f64 v[34:35], v[54:55], v[34:35]
	v_add_f64 v[108:109], v[186:187], v[108:109]
	v_mul_f64 v[86:87], v[28:29], s[14:15]
	v_add_f64 v[114:115], v[114:115], v[116:117]
	v_add_f64 v[82:83], v[82:83], v[94:95]
	v_fma_f64 v[94:95], v[40:41], s[14:15], -v[170:171]
	v_fma_f64 v[116:117], v[84:85], s[18:19], -v[130:131]
	v_mul_f64 v[128:129], v[28:29], s[24:25]
	v_add_f64 v[122:123], v[122:123], v[124:125]
	v_mul_f64 v[174:175], v[68:69], s[22:23]
	v_add_f64 v[124:125], v[168:169], v[166:167]
	v_mul_f64 v[168:169], v[70:71], s[20:21]
	v_fma_f64 v[166:167], v[64:65], s[16:17], v[132:133]
	v_fma_f64 v[70:71], v[56:57], s[14:15], -v[76:77]
	v_add_f64 v[170:171], v[176:177], v[180:181]
	v_fma_f64 v[180:181], v[64:65], s[4:5], v[48:49]
	v_fma_f64 v[132:133], v[64:65], s[42:43], v[132:133]
	;; [unrolled: 1-line block ×5, first 2 shown]
	v_add_f64 v[32:33], v[50:51], v[32:33]
	v_mul_f64 v[64:65], v[52:53], s[26:27]
	v_mul_f64 v[62:63], v[92:93], s[28:29]
	;; [unrolled: 1-line block ×4, first 2 shown]
	v_fma_f64 v[186:187], v[44:45], s[16:17], v[72:73]
	v_fma_f64 v[54:55], v[90:91], s[14:15], -v[58:59]
	v_add_f64 v[50:51], v[0:1], v[60:61]
	v_add_f64 v[66:67], v[66:67], v[114:115]
	v_fma_f64 v[114:115], v[46:47], s[14:15], -v[172:173]
	v_add_f64 v[116:117], v[116:117], v[122:123]
	v_fma_f64 v[122:123], v[44:45], s[20:21], v[134:135]
	v_fma_f64 v[172:173], v[74:75], s[6:7], -v[178:179]
	v_fma_f64 v[178:179], v[90:91], s[18:19], -v[168:169]
	v_add_f64 v[166:167], v[2:3], v[166:167]
	v_add_f64 v[60:61], v[0:1], v[70:71]
	v_fma_f64 v[134:135], v[44:45], s[38:39], v[134:135]
	v_add_f64 v[180:181], v[2:3], v[180:181]
	v_add_f64 v[132:133], v[2:3], v[132:133]
	v_fma_f64 v[168:169], v[90:91], s[18:19], v[168:169]
	v_add_f64 v[76:77], v[0:1], v[76:77]
	v_fma_f64 v[44:45], v[44:45], s[42:43], v[72:73]
	;; [unrolled: 2-line block ×3, first 2 shown]
	v_add_f64 v[0:1], v[0:1], v[56:57]
	v_add_f64 v[26:27], v[34:35], v[26:27]
	;; [unrolled: 1-line block ×3, first 2 shown]
	v_mul_f64 v[70:71], v[42:43], s[24:25]
	v_mul_f64 v[56:57], v[88:89], s[30:31]
	;; [unrolled: 1-line block ×4, first 2 shown]
	v_fma_f64 v[34:35], v[84:85], s[12:13], -v[92:93]
	v_add_f64 v[32:33], v[54:55], v[50:51]
	v_fma_f64 v[58:59], v[38:39], s[28:29], v[64:65]
	v_fma_f64 v[90:91], v[84:85], s[26:27], -v[62:63]
	v_fma_f64 v[62:63], v[84:85], s[26:27], v[62:63]
	v_add_f64 v[72:73], v[122:123], v[166:167]
	v_fma_f64 v[122:123], v[38:39], s[10:11], v[52:53]
	v_add_f64 v[50:51], v[178:179], v[60:61]
	v_add_f64 v[166:167], v[186:187], v[180:181]
	v_fma_f64 v[60:61], v[38:39], s[40:41], v[64:65]
	v_add_f64 v[64:65], v[134:135], v[132:133]
	;; [unrolled: 3-line block ×3, first 2 shown]
	v_fma_f64 v[44:45], v[84:85], s[12:13], v[92:93]
	v_add_f64 v[0:1], v[48:49], v[0:1]
	v_add_f64 v[20:21], v[26:27], v[20:21]
	;; [unrolled: 1-line block ×3, first 2 shown]
	v_mul_f64 v[54:55], v[36:37], s[12:13]
	v_mul_f64 v[48:49], v[78:79], s[36:37]
	;; [unrolled: 1-line block ×4, first 2 shown]
	v_fma_f64 v[84:85], v[30:31], s[20:21], v[42:43]
	v_fma_f64 v[26:27], v[74:75], s[18:19], -v[88:89]
	v_add_f64 v[24:25], v[34:35], v[32:33]
	v_fma_f64 v[52:53], v[30:31], s[30:31], v[70:71]
	v_fma_f64 v[176:177], v[18:19], s[16:17], v[190:191]
	v_add_f64 v[58:59], v[58:59], v[72:73]
	v_fma_f64 v[72:73], v[74:75], s[24:25], -v[56:57]
	v_add_f64 v[32:33], v[90:91], v[50:51]
	v_add_f64 v[92:93], v[122:123], v[166:167]
	v_fma_f64 v[50:51], v[30:31], s[22:23], v[70:71]
	v_add_f64 v[60:61], v[60:61], v[64:65]
	v_fma_f64 v[56:57], v[74:75], s[24:25], v[56:57]
	;; [unrolled: 2-line block ×4, first 2 shown]
	v_add_f64 v[0:1], v[44:45], v[0:1]
	v_add_f64 v[14:15], v[20:21], v[14:15]
	;; [unrolled: 1-line block ×3, first 2 shown]
	v_mul_f64 v[34:35], v[28:29], s[6:7]
	v_mul_f64 v[42:43], v[68:69], s[34:35]
	;; [unrolled: 1-line block ×4, first 2 shown]
	v_fma_f64 v[68:69], v[18:19], s[22:23], v[36:37]
	v_fma_f64 v[20:21], v[46:47], s[24:25], -v[78:79]
	v_add_f64 v[22:23], v[26:27], v[24:25]
	v_fma_f64 v[44:45], v[18:19], s[36:37], v[54:55]
	v_add_f64 v[52:53], v[52:53], v[58:59]
	v_fma_f64 v[58:59], v[46:47], s[12:13], -v[48:49]
	v_add_f64 v[24:25], v[72:73], v[32:33]
	v_add_f64 v[70:71], v[84:85], v[92:93]
	;; [unrolled: 1-line block ×3, first 2 shown]
	v_fma_f64 v[32:33], v[18:19], s[10:11], v[54:55]
	v_add_f64 v[50:51], v[50:51], v[60:61]
	v_fma_f64 v[48:49], v[46:47], s[12:13], v[48:49]
	v_add_f64 v[54:55], v[56:57], v[62:63]
	;; [unrolled: 2-line block ×4, first 2 shown]
	v_add_f64 v[38:39], v[176:177], v[66:67]
	v_add_f64 v[66:67], v[14:15], v[12:13]
	;; [unrolled: 1-line block ×3, first 2 shown]
	v_fma_f64 v[60:61], v[4:5], s[28:29], v[28:29]
	v_fma_f64 v[56:57], v[4:5], s[34:35], v[34:35]
	;; [unrolled: 1-line block ×3, first 2 shown]
	v_fma_f64 v[46:47], v[40:41], s[24:25], -v[174:175]
	v_add_f64 v[20:21], v[20:21], v[22:23]
	v_fma_f64 v[80:81], v[4:5], s[16:17], v[86:87]
	v_add_f64 v[44:45], v[44:45], v[52:53]
	v_fma_f64 v[52:53], v[40:41], s[6:7], -v[42:43]
	v_add_f64 v[58:59], v[58:59], v[24:25]
	v_add_f64 v[62:63], v[68:69], v[70:71]
	v_fma_f64 v[68:69], v[40:41], s[26:27], -v[64:65]
	v_add_f64 v[70:71], v[114:115], v[26:27]
	v_fma_f64 v[86:87], v[4:5], s[42:43], v[86:87]
	v_add_f64 v[118:119], v[118:119], v[120:121]
	v_fma_f64 v[182:183], v[4:5], s[20:21], v[182:183]
	v_fma_f64 v[120:121], v[4:5], s[30:31], v[128:129]
	;; [unrolled: 1-line block ×4, first 2 shown]
	v_add_f64 v[50:51], v[32:33], v[50:51]
	v_fma_f64 v[42:43], v[40:41], s[6:7], v[42:43]
	v_add_f64 v[48:49], v[48:49], v[54:55]
	v_fma_f64 v[4:5], v[4:5], s[40:41], v[28:29]
	;; [unrolled: 2-line block ×3, first 2 shown]
	v_add_f64 v[64:65], v[30:31], v[0:1]
	v_add_f64 v[30:31], v[66:67], v[10:11]
	v_lshrrev_b32_e32 v10, 2, v143
	v_add_f64 v[28:29], v[16:17], v[6:7]
	v_add_f64 v[22:23], v[56:57], v[44:45]
	;; [unrolled: 1-line block ×10, first 2 shown]
	v_mul_lo_u32 v10, v10, 52
	v_add_f64 v[2:3], v[182:183], v[184:185]
	v_add_f64 v[8:9], v[80:81], v[126:127]
	;; [unrolled: 1-line block ×9, first 2 shown]
	v_or_b32_e32 v4, v10, v162
	v_lshl_add_u32 v4, v4, 4, 0
	ds_write_b128 v4, v[28:31]
	ds_write_b128 v4, v[24:27] offset:64
	ds_write_b128 v4, v[20:23] offset:128
	;; [unrolled: 1-line block ×12, first 2 shown]
.LBB0_23:
	s_or_b32 exec_lo, exec_lo, s33
	v_mul_u32_u24_e32 v0, 6, v136
	v_and_b32_e32 v1, 0xff, v152
	s_waitcnt lgkmcnt(0)
	s_barrier
	buffer_gl0_inv
	v_lshlrev_b32_e32 v0, 4, v0
	v_add_nc_u32_e32 v121, v154, v158
	v_add_nc_u32_e32 v120, v156, v160
	v_mov_b32_e32 v154, 0
	s_mov_b32 s18, 0xe976ee23
	s_clause 0x5
	global_load_dwordx4 v[16:19], v0, s[8:9] offset:800
	global_load_dwordx4 v[12:15], v0, s[8:9] offset:816
	;; [unrolled: 1-line block ×6, first 2 shown]
	v_mul_lo_u16 v0, 0x4f, v1
	v_lshlrev_b64 v[167:168], 4, v[153:154]
	v_mov_b32_e32 v166, v154
	v_mov_b32_e32 v164, v154
	;; [unrolled: 1-line block ×3, first 2 shown]
	v_lshrrev_b16 v0, 12, v0
	v_mov_b32_e32 v160, v154
	v_add_co_u32 v135, s1, s8, v167
	v_add_co_ci_u32_e64 v153, s1, s9, v168, s1
	v_mul_lo_u16 v0, v0, 52
	v_lshlrev_b64 v[165:166], 4, v[165:166]
	v_add_co_u32 v167, s1, 0x16a0, v135
	v_add_co_ci_u32_e64 v168, s1, 0, v153, s1
	v_sub_nc_u16 v0, v152, v0
	v_lshlrev_b64 v[163:164], 4, v[163:164]
	v_add_co_u32 v169, s1, 0x1000, v135
	v_add_co_ci_u32_e64 v170, s1, 0, v153, s1
	v_and_b32_e32 v122, 0xff, v0
	v_lshlrev_b64 v[161:162], 4, v[161:162]
	v_add_co_u32 v135, s1, s8, v165
	v_mov_b32_e32 v158, v154
	v_mul_u32_u24_e32 v0, 6, v122
	v_add_co_ci_u32_e64 v153, s1, s9, v166, s1
	v_lshlrev_b64 v[159:160], 4, v[159:160]
	v_add_co_u32 v163, s1, s8, v163
	v_lshlrev_b32_e32 v0, 4, v0
	s_clause 0x5
	global_load_dwordx4 v[40:43], v0, s[8:9] offset:800
	global_load_dwordx4 v[36:39], v0, s[8:9] offset:816
	;; [unrolled: 1-line block ×6, first 2 shown]
	ds_read_b128 v[24:27], v198
	ds_read_b128 v[88:91], v198 offset:3328
	ds_read_b128 v[100:103], v198 offset:12480
	;; [unrolled: 1-line block ×3, first 2 shown]
	ds_read_b128 v[20:23], v203
	ds_read_b128 v[0:3], v202
	ds_read_b128 v[92:95], v198 offset:5824
	ds_read_b128 v[60:63], v198 offset:4160
	;; [unrolled: 1-line block ×12, first 2 shown]
	ds_read_b128 v[123:126], v201
	ds_read_b128 v[127:130], v121
	;; [unrolled: 1-line block ×3, first 2 shown]
	v_mov_b32_e32 v156, v154
	v_add_co_ci_u32_e64 v164, s1, s9, v164, s1
	v_lshlrev_b64 v[157:158], 4, v[157:158]
	v_add_co_u32 v165, s1, s8, v161
	v_add_co_ci_u32_e64 v166, s1, s9, v162, s1
	v_lshlrev_b64 v[155:156], 4, v[155:156]
	v_add_co_u32 v173, s1, s8, v159
	v_add_co_ci_u32_e64 v174, s1, s9, v160, s1
	v_add_co_u32 v197, s1, s8, v157
	v_add_co_ci_u32_e64 v224, s1, s9, v158, s1
	;; [unrolled: 2-line block ×5, first 2 shown]
	v_lshl_add_u32 v153, v122, 4, 0
	s_mov_b32 s19, 0xbfe11646
	s_mov_b32 s12, 0x37e14327
	;; [unrolled: 1-line block ×19, first 2 shown]
	v_add_co_u32 v159, s1, 0x16a0, v163
	v_add_co_ci_u32_e64 v160, s1, 0, v164, s1
	v_add_co_u32 v161, s1, 0x1000, v163
	v_add_co_ci_u32_e64 v162, s1, 0, v164, s1
	;; [unrolled: 2-line block ×5, first 2 shown]
	v_add_co_u32 v173, s1, 0x1000, v173
	s_waitcnt vmcnt(0) lgkmcnt(0)
	s_barrier
	buffer_gl0_inv
	v_add_co_ci_u32_e64 v174, s1, 0, v174, s1
	v_add_co_u32 v175, s1, 0x16a0, v197
	v_add_co_ci_u32_e64 v176, s1, 0, v224, s1
	v_mul_f64 v[177:178], v[125:126], v[18:19]
	v_mul_f64 v[179:180], v[123:124], v[18:19]
	;; [unrolled: 1-line block ×24, first 2 shown]
	v_fma_f64 v[122:123], v[123:124], v[16:17], -v[177:178]
	v_fma_f64 v[124:125], v[125:126], v[16:17], v[179:180]
	v_fma_f64 v[126:127], v[127:128], v[12:13], -v[181:182]
	v_fma_f64 v[128:129], v[129:130], v[12:13], v[183:184]
	;; [unrolled: 2-line block ×12, first 2 shown]
	v_mul_f64 v[46:47], v[62:63], v[42:43]
	v_mul_f64 v[42:43], v[60:61], v[42:43]
	;; [unrolled: 1-line block ×12, first 2 shown]
	v_add_f64 v[96:97], v[122:123], v[116:117]
	v_add_f64 v[98:99], v[124:125], v[118:119]
	v_add_f64 v[104:105], v[122:123], -v[116:117]
	v_add_f64 v[106:107], v[124:125], -v[118:119]
	v_add_f64 v[108:109], v[126:127], v[100:101]
	v_add_f64 v[110:111], v[128:129], v[102:103]
	v_add_f64 v[100:101], v[126:127], -v[100:101]
	v_add_f64 v[102:103], v[128:129], -v[102:103]
	;; [unrolled: 4-line block ×6, first 2 shown]
	v_fma_f64 v[8:9], v[60:61], v[40:41], -v[46:47]
	v_fma_f64 v[14:15], v[62:63], v[40:41], v[42:43]
	v_fma_f64 v[40:41], v[64:65], v[36:37], -v[84:85]
	v_fma_f64 v[36:37], v[66:67], v[36:37], v[38:39]
	;; [unrolled: 2-line block ×6, first 2 shown]
	v_add_f64 v[54:55], v[108:109], v[96:97]
	v_add_f64 v[56:57], v[110:111], v[98:99]
	v_add_f64 v[58:59], v[108:109], -v[96:97]
	v_add_f64 v[60:61], v[110:111], -v[98:99]
	;; [unrolled: 1-line block ×5, first 2 shown]
	v_add_f64 v[70:71], v[112:113], v[100:101]
	v_add_f64 v[72:73], v[114:115], v[102:103]
	v_add_f64 v[74:75], v[112:113], -v[100:101]
	v_add_f64 v[76:77], v[114:115], -v[102:103]
	;; [unrolled: 1-line block ×6, first 2 shown]
	v_add_f64 v[86:87], v[44:45], v[122:123]
	v_add_f64 v[92:93], v[44:45], -v[122:123]
	v_add_f64 v[96:97], v[122:123], -v[18:19]
	v_add_f64 v[100:101], v[10:11], v[6:7]
	v_add_f64 v[102:103], v[4:5], v[12:13]
	v_add_f64 v[108:109], v[10:11], -v[6:7]
	v_add_f64 v[110:111], v[4:5], -v[12:13]
	;; [unrolled: 1-line block ×5, first 2 shown]
	v_add_f64 v[4:5], v[8:9], v[46:47]
	v_add_f64 v[6:7], v[14:15], v[52:53]
	v_add_f64 v[46:47], v[8:9], -v[46:47]
	v_add_f64 v[8:9], v[40:41], v[30:31]
	v_add_f64 v[10:11], v[36:37], v[42:43]
	;; [unrolled: 1-line block ×3, first 2 shown]
	v_add_f64 v[64:65], v[98:99], -v[118:119]
	v_add_f64 v[94:95], v[88:89], -v[124:125]
	;; [unrolled: 1-line block ×8, first 2 shown]
	v_add_f64 v[40:41], v[38:39], v[34:35]
	v_add_f64 v[42:43], v[32:33], v[28:29]
	v_add_f64 v[34:35], v[34:35], -v[38:39]
	v_add_f64 v[28:29], v[28:29], -v[32:33]
	v_add_f64 v[32:33], v[116:117], v[54:55]
	v_add_f64 v[16:17], v[102:103], v[16:17]
	v_mul_f64 v[102:103], v[110:111], s[18:19]
	v_add_f64 v[14:15], v[14:15], -v[52:53]
	v_add_f64 v[38:39], v[118:119], v[56:57]
	v_add_f64 v[18:19], v[18:19], v[86:87]
	;; [unrolled: 1-line block ×7, first 2 shown]
	v_mul_f64 v[56:57], v[62:63], s[12:13]
	v_mul_f64 v[62:63], v[64:65], s[12:13]
	;; [unrolled: 1-line block ×8, first 2 shown]
	v_add_f64 v[50:51], v[100:101], v[50:51]
	v_mul_f64 v[86:87], v[96:97], s[12:13]
	v_mul_f64 v[90:91], v[98:99], s[12:13]
	;; [unrolled: 1-line block ×7, first 2 shown]
	v_add_f64 v[126:127], v[4:5], -v[40:41]
	v_add_f64 v[128:129], v[6:7], -v[42:43]
	;; [unrolled: 1-line block ×6, first 2 shown]
	v_add_f64 v[40:41], v[40:41], v[110:111]
	v_add_f64 v[42:43], v[42:43], v[116:117]
	v_add_f64 v[118:119], v[8:9], -v[4:5]
	v_add_f64 v[124:125], v[10:11], -v[6:7]
	v_add_f64 v[134:135], v[34:35], v[30:31]
	v_add_f64 v[177:178], v[28:29], v[36:37]
	v_add_f64 v[30:31], v[30:31], -v[46:47]
	v_add_f64 v[36:37], v[36:37], -v[14:15]
	v_add_f64 v[4:5], v[24:25], v[32:33]
	v_add_f64 v[6:7], v[26:27], v[38:39]
	;; [unrolled: 1-line block ×4, first 2 shown]
	v_add_f64 v[34:35], v[46:47], -v[34:35]
	v_add_f64 v[28:29], v[14:15], -v[28:29]
	v_fma_f64 v[24:25], v[66:67], s[4:5], v[56:57]
	v_fma_f64 v[26:27], v[68:69], s[4:5], v[62:63]
	v_fma_f64 v[64:65], v[58:59], s[16:17], -v[64:65]
	v_fma_f64 v[66:67], v[60:61], s[16:17], -v[70:71]
	v_fma_f64 v[56:57], v[58:59], s[14:15], -v[56:57]
	v_fma_f64 v[58:59], v[60:61], s[14:15], -v[62:63]
	v_fma_f64 v[60:61], v[78:79], s[22:23], v[72:73]
	v_fma_f64 v[62:63], v[80:81], s[22:23], v[74:75]
	v_fma_f64 v[68:69], v[82:83], s[10:11], -v[72:73]
	v_fma_f64 v[70:71], v[84:85], s[10:11], -v[74:75]
	v_fma_f64 v[72:73], v[78:79], s[24:25], -v[76:77]
	v_fma_f64 v[74:75], v[80:81], s[24:25], -v[104:105]
	;; [unrolled: 6-line block ×4, first 2 shown]
	v_mul_f64 v[92:93], v[126:127], s[12:13]
	v_mul_f64 v[94:95], v[128:129], s[12:13]
	;; [unrolled: 1-line block ×4, first 2 shown]
	v_add_f64 v[0:1], v[0:1], v[40:41]
	v_add_f64 v[2:3], v[2:3], v[42:43]
	v_mul_f64 v[104:105], v[30:31], s[10:11]
	v_mul_f64 v[106:107], v[36:37], s[10:11]
	v_fma_f64 v[32:33], v[32:33], s[6:7], v[4:5]
	v_fma_f64 v[38:39], v[38:39], s[6:7], v[6:7]
	v_mul_f64 v[96:97], v[130:131], s[4:5]
	v_mul_f64 v[98:99], v[132:133], s[4:5]
	v_fma_f64 v[18:19], v[18:19], s[6:7], v[8:9]
	v_fma_f64 v[48:49], v[48:49], s[6:7], v[10:11]
	v_add_f64 v[46:47], v[134:135], v[46:47]
	v_add_f64 v[14:15], v[177:178], v[14:15]
	v_fma_f64 v[60:61], v[52:53], s[20:21], v[60:61]
	v_fma_f64 v[62:63], v[54:55], s[20:21], v[62:63]
	;; [unrolled: 1-line block ×18, first 2 shown]
	v_fma_f64 v[30:31], v[30:31], s[10:11], -v[100:101]
	v_fma_f64 v[36:37], v[36:37], s[10:11], -v[102:103]
	v_fma_f64 v[34:35], v[34:35], s[24:25], -v[104:105]
	v_fma_f64 v[28:29], v[28:29], s[24:25], -v[106:107]
	v_add_f64 v[100:101], v[24:25], v[32:33]
	v_add_f64 v[102:103], v[26:27], v[38:39]
	;; [unrolled: 1-line block ×6, first 2 shown]
	v_fma_f64 v[32:33], v[118:119], s[14:15], -v[92:93]
	v_fma_f64 v[38:39], v[124:125], s[14:15], -v[94:95]
	;; [unrolled: 1-line block ×4, first 2 shown]
	v_add_f64 v[64:65], v[20:21], v[18:19]
	v_add_f64 v[66:67], v[22:23], v[48:49]
	;; [unrolled: 1-line block ×6, first 2 shown]
	v_fma_f64 v[94:95], v[46:47], s[20:21], v[12:13]
	v_fma_f64 v[104:105], v[14:15], s[20:21], v[16:17]
	v_add_f64 v[114:115], v[50:51], v[40:41]
	v_add_f64 v[90:91], v[90:91], v[42:43]
	v_fma_f64 v[110:111], v[46:47], s[20:21], v[34:35]
	v_fma_f64 v[112:113], v[14:15], s[20:21], v[28:29]
	;; [unrolled: 1-line block ×4, first 2 shown]
	v_add_f64 v[12:13], v[62:63], v[100:101]
	v_add_f64 v[14:15], v[102:103], -v[60:61]
	v_add_f64 v[16:17], v[54:55], v[56:57]
	v_add_f64 v[18:19], v[58:59], -v[52:53]
	v_add_f64 v[116:117], v[32:33], v[40:41]
	v_add_f64 v[118:119], v[38:39], v[42:43]
	;; [unrolled: 1-line block ×4, first 2 shown]
	v_add_f64 v[20:21], v[24:25], -v[70:71]
	v_add_f64 v[22:23], v[68:69], v[26:27]
	v_add_f64 v[24:25], v[70:71], v[24:25]
	v_add_f64 v[26:27], v[26:27], -v[68:69]
	v_add_f64 v[28:29], v[56:57], -v[54:55]
	v_add_f64 v[30:31], v[52:53], v[58:59]
	v_add_f64 v[32:33], v[100:101], -v[62:63]
	v_add_f64 v[34:35], v[60:61], v[102:103]
	v_add_f64 v[36:37], v[74:75], v[64:65]
	v_add_f64 v[38:39], v[66:67], -v[72:73]
	v_add_f64 v[40:41], v[88:89], v[78:79]
	v_add_f64 v[42:43], v[80:81], -v[86:87]
	v_add_f64 v[44:45], v[92:93], -v[84:85]
	v_add_f64 v[46:47], v[82:83], v[76:77]
	v_add_f64 v[48:49], v[84:85], v[92:93]
	v_add_f64 v[50:51], v[76:77], -v[82:83]
	v_add_f64 v[52:53], v[78:79], -v[88:89]
	v_add_f64 v[54:55], v[86:87], v[80:81]
	v_add_f64 v[56:57], v[64:65], -v[74:75]
	v_add_f64 v[58:59], v[72:73], v[66:67]
	v_add_f64 v[60:61], v[104:105], v[114:115]
	v_add_f64 v[62:63], v[90:91], -v[94:95]
	v_add_f64 v[64:65], v[112:113], v[116:117]
	v_add_f64 v[66:67], v[118:119], -v[110:111]
	v_add_f64 v[68:69], v[96:97], -v[108:109]
	v_add_f64 v[70:71], v[106:107], v[98:99]
	v_add_f64 v[72:73], v[108:109], v[96:97]
	v_add_f64 v[74:75], v[98:99], -v[106:107]
	v_add_f64 v[76:77], v[116:117], -v[112:113]
	v_add_f64 v[78:79], v[110:111], v[118:119]
	v_add_f64 v[80:81], v[114:115], -v[104:105]
	v_add_f64 v[82:83], v[94:95], v[90:91]
	ds_write_b128 v198, v[4:7]
	ds_write_b128 v198, v[8:11] offset:5824
	ds_write_b128 v153, v[0:3] offset:11648
	;; [unrolled: 1-line block ×20, first 2 shown]
	s_waitcnt lgkmcnt(0)
	s_barrier
	buffer_gl0_inv
	s_clause 0x2
	global_load_dwordx4 v[0:3], v[169:170], off offset:1696
	global_load_dwordx4 v[4:7], v[167:168], off offset:16
	;; [unrolled: 1-line block ×3, first 2 shown]
	v_add_co_u32 v8, s1, 0x1000, v197
	s_clause 0x3
	global_load_dwordx4 v[16:19], v[155:156], off offset:16
	global_load_dwordx4 v[20:23], v[161:162], off offset:1696
	;; [unrolled: 1-line block ×4, first 2 shown]
	v_add_co_ci_u32_e64 v9, s1, 0, v224, s1
	v_add_co_u32 v10, s1, 0x1000, v225
	v_add_co_ci_u32_e64 v11, s1, 0, v226, s1
	s_clause 0x3
	global_load_dwordx4 v[32:35], v[163:164], off offset:16
	global_load_dwordx4 v[36:39], v[173:174], off offset:1696
	;; [unrolled: 1-line block ×4, first 2 shown]
	v_add_co_u32 v8, s1, 0x16a0, v225
	v_add_co_ci_u32_e64 v9, s1, 0, v226, s1
	s_clause 0x2
	global_load_dwordx4 v[48:51], v[175:176], off offset:16
	global_load_dwordx4 v[52:55], v[10:11], off offset:1696
	;; [unrolled: 1-line block ×3, first 2 shown]
	v_add_nc_u32_e32 v10, v205, v207
	v_add_nc_u32_e32 v11, v204, v206
	ds_read_b128 v[60:63], v10
	ds_read_b128 v[64:67], v198 offset:11648
	ds_read_b128 v[68:71], v198
	ds_read_b128 v[72:75], v198 offset:6656
	ds_read_b128 v[76:79], v203
	ds_read_b128 v[80:83], v202
	ds_read_b128 v[84:87], v198 offset:12480
	ds_read_b128 v[88:91], v198 offset:13312
	;; [unrolled: 1-line block ×4, first 2 shown]
	ds_read_b128 v[100:103], v201
	ds_read_b128 v[104:107], v200
	ds_read_b128 v[108:111], v198 offset:14144
	ds_read_b128 v[112:115], v198 offset:14976
	ds_read_b128 v[116:119], v11
	ds_read_b128 v[122:125], v198 offset:9152
	ds_read_b128 v[126:129], v198 offset:9984
	;; [unrolled: 3-line block ×3, first 2 shown]
	ds_read_b128 v[163:166], v198 offset:16640
	s_mov_b32 s4, 0xe8584caa
	s_mov_b32 s5, 0x3febb67a
	s_mov_b32 s7, 0xbfebb67a
	s_mov_b32 s6, s4
	s_waitcnt vmcnt(0) lgkmcnt(0)
	s_barrier
	buffer_gl0_inv
	v_mul_f64 v[8:9], v[62:63], v[2:3]
	v_mul_f64 v[2:3], v[60:61], v[2:3]
	v_mul_f64 v[134:135], v[66:67], v[6:7]
	v_mul_f64 v[6:7], v[64:65], v[6:7]
	v_mul_f64 v[167:168], v[74:75], v[14:15]
	v_mul_f64 v[14:15], v[72:73], v[14:15]
	v_mul_f64 v[169:170], v[86:87], v[18:19]
	v_mul_f64 v[18:19], v[84:85], v[18:19]
	v_mul_f64 v[171:172], v[94:95], v[22:23]
	v_mul_f64 v[22:23], v[92:93], v[22:23]
	v_mul_f64 v[173:174], v[90:91], v[26:27]
	v_mul_f64 v[26:27], v[88:89], v[26:27]
	v_mul_f64 v[175:176], v[98:99], v[30:31]
	v_mul_f64 v[30:31], v[96:97], v[30:31]
	v_mul_f64 v[177:178], v[110:111], v[34:35]
	v_mul_f64 v[34:35], v[108:109], v[34:35]
	v_mul_f64 v[179:180], v[124:125], v[38:39]
	v_mul_f64 v[38:39], v[122:123], v[38:39]
	v_mul_f64 v[181:182], v[114:115], v[42:43]
	v_mul_f64 v[42:43], v[112:113], v[42:43]
	v_mul_f64 v[183:184], v[128:129], v[46:47]
	v_mul_f64 v[46:47], v[126:127], v[46:47]
	v_mul_f64 v[185:186], v[161:162], v[50:51]
	v_mul_f64 v[50:51], v[159:160], v[50:51]
	v_mul_f64 v[187:188], v[157:158], v[54:55]
	v_mul_f64 v[54:55], v[155:156], v[54:55]
	v_mul_f64 v[189:190], v[165:166], v[58:59]
	v_mul_f64 v[58:59], v[163:164], v[58:59]
	v_fma_f64 v[8:9], v[60:61], v[0:1], -v[8:9]
	v_fma_f64 v[0:1], v[62:63], v[0:1], v[2:3]
	v_fma_f64 v[2:3], v[64:65], v[4:5], -v[134:135]
	v_fma_f64 v[4:5], v[66:67], v[4:5], v[6:7]
	;; [unrolled: 2-line block ×14, first 2 shown]
	v_add_f64 v[58:59], v[68:69], v[8:9]
	v_add_f64 v[60:61], v[8:9], v[2:3]
	v_add_f64 v[66:67], v[0:1], v[4:5]
	v_add_f64 v[64:65], v[70:71], v[0:1]
	v_add_f64 v[74:75], v[6:7], v[14:15]
	v_add_f64 v[84:85], v[12:13], -v[16:17]
	v_add_f64 v[86:87], v[78:79], v[12:13]
	v_add_f64 v[12:13], v[12:13], v[16:17]
	;; [unrolled: 1-line block ×3, first 2 shown]
	v_add_f64 v[94:95], v[20:21], -v[24:25]
	v_add_f64 v[96:97], v[82:83], v[20:21]
	v_add_f64 v[20:21], v[20:21], v[24:25]
	;; [unrolled: 1-line block ×4, first 2 shown]
	v_add_f64 v[110:111], v[28:29], -v[32:33]
	v_add_f64 v[112:113], v[102:103], v[28:29]
	v_add_f64 v[28:29], v[28:29], v[32:33]
	v_add_f64 v[122:123], v[34:35], v[38:39]
	v_add_f64 v[124:125], v[36:37], -v[40:41]
	v_add_f64 v[126:127], v[106:107], v[36:37]
	v_add_f64 v[36:37], v[36:37], v[40:41]
	v_add_f64 v[134:135], v[42:43], v[46:47]
	;; [unrolled: 4-line block ×3, first 2 shown]
	v_add_f64 v[163:164], v[52:53], -v[56:57]
	v_add_f64 v[165:166], v[132:133], v[52:53]
	v_add_f64 v[52:53], v[52:53], v[56:57]
	v_add_f64 v[62:63], v[0:1], -v[4:5]
	v_add_f64 v[8:9], v[8:9], -v[2:3]
	v_add_f64 v[90:91], v[80:81], v[18:19]
	v_add_f64 v[98:99], v[18:19], -v[22:23]
	v_add_f64 v[18:19], v[100:101], v[26:27]
	;; [unrolled: 2-line block ×6, first 2 shown]
	v_fma_f64 v[50:51], v[60:61], -0.5, v[68:69]
	v_fma_f64 v[58:59], v[66:67], -0.5, v[70:71]
	v_add_f64 v[88:89], v[6:7], -v[14:15]
	v_add_f64 v[2:3], v[64:65], v[4:5]
	v_fma_f64 v[60:61], v[74:75], -0.5, v[76:77]
	v_fma_f64 v[64:65], v[12:13], -0.5, v[78:79]
	;; [unrolled: 1-line block ×4, first 2 shown]
	v_add_f64 v[4:5], v[72:73], v[14:15]
	v_fma_f64 v[70:71], v[108:109], -0.5, v[100:101]
	v_fma_f64 v[72:73], v[28:29], -0.5, v[102:103]
	;; [unrolled: 1-line block ×6, first 2 shown]
	v_add_f64 v[6:7], v[86:87], v[16:17]
	v_fma_f64 v[82:83], v[161:162], -0.5, v[130:131]
	v_fma_f64 v[86:87], v[52:53], -0.5, v[132:133]
	v_add_f64 v[14:15], v[96:97], v[24:25]
	v_add_f64 v[16:17], v[18:19], v[30:31]
	;; [unrolled: 1-line block ×4, first 2 shown]
	v_fma_f64 v[32:33], v[62:63], s[4:5], v[50:51]
	v_fma_f64 v[34:35], v[8:9], s[6:7], v[58:59]
	v_add_f64 v[20:21], v[26:27], v[38:39]
	v_fma_f64 v[36:37], v[62:63], s[6:7], v[50:51]
	v_fma_f64 v[38:39], v[8:9], s[4:5], v[58:59]
	v_add_f64 v[12:13], v[90:91], v[22:23]
	v_add_f64 v[22:23], v[126:127], v[40:41]
	;; [unrolled: 1-line block ×3, first 2 shown]
	v_fma_f64 v[40:41], v[84:85], s[4:5], v[60:61]
	v_fma_f64 v[42:43], v[88:89], s[6:7], v[64:65]
	;; [unrolled: 1-line block ×4, first 2 shown]
	v_add_f64 v[26:27], v[157:158], v[48:49]
	v_fma_f64 v[48:49], v[94:95], s[4:5], v[66:67]
	v_fma_f64 v[50:51], v[98:99], s[6:7], v[68:69]
	;; [unrolled: 1-line block ×4, first 2 shown]
	v_add_f64 v[30:31], v[165:166], v[56:57]
	v_fma_f64 v[56:57], v[110:111], s[4:5], v[70:71]
	v_fma_f64 v[58:59], v[114:115], s[6:7], v[72:73]
	;; [unrolled: 1-line block ×16, first 2 shown]
	ds_write_b128 v198, v[0:3]
	ds_write_b128 v198, v[32:35] offset:5824
	ds_write_b128 v198, v[36:39] offset:11648
	ds_write_b128 v203, v[4:7]
	ds_write_b128 v203, v[40:43] offset:5824
	ds_write_b128 v203, v[44:47] offset:11648
	;; [unrolled: 3-line block ×7, first 2 shown]
	s_waitcnt lgkmcnt(0)
	s_barrier
	buffer_gl0_inv
	ds_read_b128 v[4:7], v198
	v_sub_nc_u32_e32 v12, 0, v137
	s_add_u32 s4, s8, 0x4420
	s_addc_u32 s5, s9, 0
	s_mov_b32 s6, exec_lo
                                        ; implicit-def: $vgpr2_vgpr3
                                        ; implicit-def: $vgpr8_vgpr9
	v_cmpx_ne_u32_e32 0, v136
	s_xor_b32 s6, exec_lo, s6
	s_cbranch_execz .LBB0_25
; %bb.24:
	v_mov_b32_e32 v137, v154
	v_lshlrev_b64 v[0:1], 4, v[136:137]
	v_add_co_u32 v0, s1, s4, v0
	v_add_co_ci_u32_e64 v1, s1, s5, v1, s1
	global_load_dwordx4 v[13:16], v[0:1], off
	ds_read_b128 v[0:3], v12 offset:17472
	s_waitcnt lgkmcnt(0)
	v_add_f64 v[8:9], v[4:5], -v[0:1]
	v_add_f64 v[17:18], v[6:7], v[2:3]
	v_add_f64 v[2:3], v[6:7], -v[2:3]
	v_add_f64 v[0:1], v[4:5], v[0:1]
	v_mul_f64 v[6:7], v[8:9], 0.5
	v_mul_f64 v[4:5], v[17:18], 0.5
	;; [unrolled: 1-line block ×3, first 2 shown]
	s_waitcnt vmcnt(0)
	v_mul_f64 v[8:9], v[6:7], v[15:16]
	v_fma_f64 v[17:18], v[4:5], v[15:16], v[2:3]
	v_fma_f64 v[2:3], v[4:5], v[15:16], -v[2:3]
	v_fma_f64 v[19:20], v[0:1], 0.5, v[8:9]
	v_fma_f64 v[0:1], v[0:1], 0.5, -v[8:9]
	v_fma_f64 v[8:9], -v[13:14], v[6:7], v[17:18]
	v_fma_f64 v[2:3], -v[13:14], v[6:7], v[2:3]
	v_fma_f64 v[15:16], v[4:5], v[13:14], v[19:20]
	v_fma_f64 v[0:1], -v[4:5], v[13:14], v[0:1]
                                        ; implicit-def: $vgpr4_vgpr5
	ds_write_b64 v198, v[15:16]
.LBB0_25:
	s_or_saveexec_b32 s1, s6
	v_sub_nc_u32_e32 v13, 0, v144
	s_xor_b32 exec_lo, exec_lo, s1
	s_cbranch_execz .LBB0_27
; %bb.26:
	v_mov_b32_e32 v18, 0
	s_waitcnt lgkmcnt(0)
	v_add_f64 v[16:17], v[4:5], v[6:7]
	v_add_f64 v[0:1], v[4:5], -v[6:7]
	v_mov_b32_e32 v8, 0
	v_mov_b32_e32 v9, 0
	ds_read_b64 v[14:15], v18 offset:8744
	v_mov_b32_e32 v2, v8
	v_mov_b32_e32 v3, v9
	s_waitcnt lgkmcnt(0)
	v_xor_b32_e32 v15, 0x80000000, v15
	ds_write_b64 v198, v[16:17]
	ds_write_b64 v18, v[14:15] offset:8744
.LBB0_27:
	s_or_b32 exec_lo, exec_lo, s1
	v_mov_b32_e32 v144, 0
	ds_write_b64 v198, v[8:9] offset:8
	ds_write_b128 v12, v[0:3] offset:17472
	v_add_nc_u32_e32 v13, v199, v13
	s_waitcnt lgkmcnt(2)
	v_lshlrev_b64 v[4:5], 4, v[143:144]
	v_mov_b32_e32 v153, v144
	v_lshlrev_b64 v[14:15], 4, v[152:153]
	v_add_co_u32 v4, s1, s4, v4
	v_add_co_ci_u32_e64 v5, s1, s5, v5, s1
	v_mov_b32_e32 v152, v144
	v_add_co_u32 v14, s1, s4, v14
	global_load_dwordx4 v[4:7], v[4:5], off
	v_add_co_ci_u32_e64 v15, s1, s5, v15, s1
	v_lshlrev_b64 v[8:9], 4, v[151:152]
	v_mov_b32_e32 v151, v144
	global_load_dwordx4 v[14:17], v[14:15], off
	ds_read_b128 v[0:3], v203
	ds_read_b128 v[18:21], v12 offset:16640
	v_add_co_u32 v8, s1, s4, v8
	v_add_co_ci_u32_e64 v9, s1, s5, v9, s1
	global_load_dwordx4 v[22:25], v[8:9], off
	s_waitcnt lgkmcnt(0)
	v_add_f64 v[8:9], v[0:1], -v[18:19]
	v_add_f64 v[26:27], v[2:3], v[20:21]
	v_add_f64 v[2:3], v[2:3], -v[20:21]
	v_add_f64 v[0:1], v[0:1], v[18:19]
	v_mul_f64 v[8:9], v[8:9], 0.5
	v_mul_f64 v[20:21], v[26:27], 0.5
	;; [unrolled: 1-line block ×3, first 2 shown]
	s_waitcnt vmcnt(2)
	v_mul_f64 v[18:19], v[8:9], v[6:7]
	v_fma_f64 v[26:27], v[20:21], v[6:7], v[2:3]
	v_fma_f64 v[6:7], v[20:21], v[6:7], -v[2:3]
	v_fma_f64 v[28:29], v[0:1], 0.5, v[18:19]
	v_fma_f64 v[18:19], v[0:1], 0.5, -v[18:19]
	v_fma_f64 v[2:3], -v[4:5], v[8:9], v[26:27]
	v_fma_f64 v[6:7], -v[4:5], v[8:9], v[6:7]
	v_lshlrev_b64 v[8:9], 4, v[150:151]
	v_mov_b32_e32 v150, v144
	v_add_co_u32 v8, s1, s4, v8
	v_add_co_ci_u32_e64 v9, s1, s5, v9, s1
	v_fma_f64 v[0:1], v[20:21], v[4:5], v[28:29]
	v_fma_f64 v[4:5], -v[20:21], v[4:5], v[18:19]
	ds_write_b128 v203, v[0:3]
	ds_write_b128 v12, v[4:7] offset:16640
	ds_read_b128 v[0:3], v202
	ds_read_b128 v[4:7], v12 offset:15808
	global_load_dwordx4 v[18:21], v[8:9], off
	s_waitcnt lgkmcnt(0)
	v_add_f64 v[8:9], v[0:1], -v[4:5]
	v_add_f64 v[26:27], v[2:3], v[6:7]
	v_add_f64 v[2:3], v[2:3], -v[6:7]
	v_add_f64 v[0:1], v[0:1], v[4:5]
	v_mul_f64 v[6:7], v[8:9], 0.5
	v_mul_f64 v[8:9], v[26:27], 0.5
	v_mul_f64 v[2:3], v[2:3], 0.5
	s_waitcnt vmcnt(2)
	v_mul_f64 v[4:5], v[6:7], v[16:17]
	v_fma_f64 v[26:27], v[8:9], v[16:17], v[2:3]
	v_fma_f64 v[16:17], v[8:9], v[16:17], -v[2:3]
	v_fma_f64 v[28:29], v[0:1], 0.5, v[4:5]
	v_fma_f64 v[4:5], v[0:1], 0.5, -v[4:5]
	v_fma_f64 v[2:3], -v[14:15], v[6:7], v[26:27]
	v_fma_f64 v[6:7], -v[14:15], v[6:7], v[16:17]
	v_fma_f64 v[0:1], v[8:9], v[14:15], v[28:29]
	v_fma_f64 v[4:5], -v[8:9], v[14:15], v[4:5]
	v_lshlrev_b64 v[8:9], 4, v[149:150]
	v_mov_b32_e32 v149, v144
	ds_write_b128 v202, v[0:3]
	ds_write_b128 v12, v[4:7] offset:15808
	v_add_co_u32 v8, s1, s4, v8
	ds_read_b128 v[0:3], v201
	ds_read_b128 v[4:7], v12 offset:14976
	v_add_co_ci_u32_e64 v9, s1, s5, v9, s1
	global_load_dwordx4 v[14:17], v[8:9], off
	s_waitcnt lgkmcnt(0)
	v_add_f64 v[8:9], v[0:1], -v[4:5]
	v_add_f64 v[26:27], v[2:3], v[6:7]
	v_add_f64 v[2:3], v[2:3], -v[6:7]
	v_add_f64 v[0:1], v[0:1], v[4:5]
	v_mul_f64 v[6:7], v[8:9], 0.5
	v_mul_f64 v[8:9], v[26:27], 0.5
	v_mul_f64 v[2:3], v[2:3], 0.5
	s_waitcnt vmcnt(2)
	v_mul_f64 v[4:5], v[6:7], v[24:25]
	v_fma_f64 v[26:27], v[8:9], v[24:25], v[2:3]
	v_fma_f64 v[24:25], v[8:9], v[24:25], -v[2:3]
	v_fma_f64 v[28:29], v[0:1], 0.5, v[4:5]
	v_fma_f64 v[4:5], v[0:1], 0.5, -v[4:5]
	v_fma_f64 v[2:3], -v[22:23], v[6:7], v[26:27]
	v_fma_f64 v[6:7], -v[22:23], v[6:7], v[24:25]
	v_fma_f64 v[0:1], v[8:9], v[22:23], v[28:29]
	v_fma_f64 v[4:5], -v[8:9], v[22:23], v[4:5]
	v_lshlrev_b64 v[8:9], 4, v[148:149]
	v_mov_b32_e32 v148, v144
	ds_write_b128 v201, v[0:3]
	ds_write_b128 v12, v[4:7] offset:14976
	v_add_co_u32 v8, s1, s4, v8
	ds_read_b128 v[0:3], v200
	ds_read_b128 v[4:7], v12 offset:14144
	v_add_co_ci_u32_e64 v9, s1, s5, v9, s1
	;; [unrolled: 27-line block ×4, first 2 shown]
	global_load_dwordx4 v[14:17], v[8:9], off
	s_waitcnt lgkmcnt(0)
	v_add_f64 v[8:9], v[0:1], -v[4:5]
	v_add_f64 v[26:27], v[2:3], v[6:7]
	v_add_f64 v[2:3], v[2:3], -v[6:7]
	v_add_f64 v[0:1], v[0:1], v[4:5]
	v_mul_f64 v[6:7], v[8:9], 0.5
	v_mul_f64 v[8:9], v[26:27], 0.5
	;; [unrolled: 1-line block ×3, first 2 shown]
	s_waitcnt vmcnt(2)
	v_mul_f64 v[4:5], v[6:7], v[24:25]
	v_fma_f64 v[26:27], v[8:9], v[24:25], v[2:3]
	v_fma_f64 v[24:25], v[8:9], v[24:25], -v[2:3]
	v_fma_f64 v[28:29], v[0:1], 0.5, v[4:5]
	v_fma_f64 v[4:5], v[0:1], 0.5, -v[4:5]
	v_fma_f64 v[2:3], -v[22:23], v[6:7], v[26:27]
	v_fma_f64 v[6:7], -v[22:23], v[6:7], v[24:25]
	v_fma_f64 v[0:1], v[8:9], v[22:23], v[28:29]
	v_fma_f64 v[4:5], -v[8:9], v[22:23], v[4:5]
	v_lshlrev_b64 v[8:9], 4, v[145:146]
	ds_write_b128 v121, v[0:3]
	ds_write_b128 v12, v[4:7] offset:12480
	v_add_co_u32 v8, s1, s4, v8
	ds_read_b128 v[0:3], v10
	ds_read_b128 v[4:7], v12 offset:11648
	v_add_co_ci_u32_e64 v9, s1, s5, v9, s1
	global_load_dwordx4 v[22:25], v[8:9], off
	s_waitcnt lgkmcnt(0)
	v_add_f64 v[8:9], v[0:1], -v[4:5]
	v_add_f64 v[26:27], v[2:3], v[6:7]
	v_add_f64 v[2:3], v[2:3], -v[6:7]
	v_add_f64 v[0:1], v[0:1], v[4:5]
	v_mul_f64 v[6:7], v[8:9], 0.5
	v_mul_f64 v[8:9], v[26:27], 0.5
	;; [unrolled: 1-line block ×3, first 2 shown]
	s_waitcnt vmcnt(2)
	v_mul_f64 v[4:5], v[6:7], v[20:21]
	v_fma_f64 v[26:27], v[8:9], v[20:21], v[2:3]
	v_fma_f64 v[20:21], v[8:9], v[20:21], -v[2:3]
	v_fma_f64 v[28:29], v[0:1], 0.5, v[4:5]
	v_fma_f64 v[4:5], v[0:1], 0.5, -v[4:5]
	v_fma_f64 v[2:3], -v[18:19], v[6:7], v[26:27]
	v_fma_f64 v[6:7], -v[18:19], v[6:7], v[20:21]
	v_fma_f64 v[0:1], v[8:9], v[18:19], v[28:29]
	v_fma_f64 v[4:5], -v[8:9], v[18:19], v[4:5]
	ds_write_b128 v10, v[0:3]
	ds_write_b128 v12, v[4:7] offset:11648
	ds_read_b128 v[0:3], v13
	ds_read_b128 v[4:7], v12 offset:10816
	s_waitcnt lgkmcnt(0)
	v_add_f64 v[8:9], v[0:1], -v[4:5]
	v_add_f64 v[10:11], v[2:3], v[6:7]
	v_add_f64 v[2:3], v[2:3], -v[6:7]
	v_add_f64 v[0:1], v[0:1], v[4:5]
	v_mul_f64 v[6:7], v[8:9], 0.5
	v_mul_f64 v[8:9], v[10:11], 0.5
	;; [unrolled: 1-line block ×3, first 2 shown]
	s_waitcnt vmcnt(1)
	v_mul_f64 v[4:5], v[6:7], v[16:17]
	v_fma_f64 v[10:11], v[8:9], v[16:17], v[2:3]
	v_fma_f64 v[16:17], v[8:9], v[16:17], -v[2:3]
	v_fma_f64 v[18:19], v[0:1], 0.5, v[4:5]
	v_fma_f64 v[4:5], v[0:1], 0.5, -v[4:5]
	v_fma_f64 v[2:3], -v[14:15], v[6:7], v[10:11]
	v_fma_f64 v[6:7], -v[14:15], v[6:7], v[16:17]
	v_fma_f64 v[0:1], v[8:9], v[14:15], v[18:19]
	v_fma_f64 v[4:5], -v[8:9], v[14:15], v[4:5]
	ds_write_b128 v13, v[0:3]
	ds_write_b128 v12, v[4:7] offset:10816
	ds_read_b128 v[0:3], v120
	ds_read_b128 v[4:7], v12 offset:9984
	s_waitcnt lgkmcnt(0)
	v_add_f64 v[8:9], v[0:1], -v[4:5]
	v_add_f64 v[10:11], v[2:3], v[6:7]
	v_add_f64 v[2:3], v[2:3], -v[6:7]
	v_add_f64 v[0:1], v[0:1], v[4:5]
	v_mul_f64 v[6:7], v[8:9], 0.5
	v_mul_f64 v[8:9], v[10:11], 0.5
	v_mul_f64 v[2:3], v[2:3], 0.5
	s_waitcnt vmcnt(0)
	v_mul_f64 v[4:5], v[6:7], v[24:25]
	v_fma_f64 v[10:11], v[8:9], v[24:25], v[2:3]
	v_fma_f64 v[13:14], v[8:9], v[24:25], -v[2:3]
	v_fma_f64 v[15:16], v[0:1], 0.5, v[4:5]
	v_fma_f64 v[4:5], v[0:1], 0.5, -v[4:5]
	v_fma_f64 v[2:3], -v[22:23], v[6:7], v[10:11]
	v_fma_f64 v[6:7], -v[22:23], v[6:7], v[13:14]
	v_fma_f64 v[0:1], v[8:9], v[22:23], v[15:16]
	v_fma_f64 v[4:5], -v[8:9], v[22:23], v[4:5]
	ds_write_b128 v120, v[0:3]
	ds_write_b128 v12, v[4:7] offset:9984
	s_and_saveexec_b32 s1, s0
	s_cbranch_execz .LBB0_29
; %bb.28:
	v_mov_b32_e32 v143, v144
	v_lshlrev_b64 v[0:1], 4, v[142:143]
	v_add_co_u32 v0, s0, s4, v0
	v_add_co_ci_u32_e64 v1, s0, s5, v1, s0
	global_load_dwordx4 v[0:3], v[0:1], off
	ds_read_b128 v[4:7], v139
	ds_read_b128 v[8:11], v12 offset:9152
	s_waitcnt lgkmcnt(0)
	v_add_f64 v[13:14], v[4:5], -v[8:9]
	v_add_f64 v[15:16], v[6:7], v[10:11]
	v_add_f64 v[6:7], v[6:7], -v[10:11]
	v_add_f64 v[4:5], v[4:5], v[8:9]
	v_mul_f64 v[10:11], v[13:14], 0.5
	v_mul_f64 v[13:14], v[15:16], 0.5
	;; [unrolled: 1-line block ×3, first 2 shown]
	s_waitcnt vmcnt(0)
	v_mul_f64 v[8:9], v[10:11], v[2:3]
	v_fma_f64 v[15:16], v[13:14], v[2:3], v[6:7]
	v_fma_f64 v[2:3], v[13:14], v[2:3], -v[6:7]
	v_fma_f64 v[6:7], v[4:5], 0.5, v[8:9]
	v_fma_f64 v[17:18], v[4:5], 0.5, -v[8:9]
	v_fma_f64 v[4:5], -v[0:1], v[10:11], v[15:16]
	v_fma_f64 v[8:9], -v[0:1], v[10:11], v[2:3]
	v_fma_f64 v[2:3], v[13:14], v[0:1], v[6:7]
	v_fma_f64 v[6:7], -v[13:14], v[0:1], v[17:18]
	ds_write_b128 v139, v[2:5]
	ds_write_b128 v12, v[6:9] offset:9152
.LBB0_29:
	s_or_b32 exec_lo, exec_lo, s1
	s_waitcnt lgkmcnt(0)
	s_barrier
	buffer_gl0_inv
	s_and_saveexec_b32 s0, vcc_lo
	s_cbranch_execz .LBB0_32
; %bb.30:
	ds_read_b128 v[2:5], v198
	v_mov_b32_e32 v137, 0
	v_add_co_u32 v0, vcc_lo, s2, v140
	v_add_co_ci_u32_e32 v1, vcc_lo, s3, v141, vcc_lo
	v_lshlrev_b64 v[18:19], 4, v[136:137]
	ds_read_b128 v[6:9], v198 offset:832
	ds_read_b128 v[10:13], v198 offset:1664
	;; [unrolled: 1-line block ×3, first 2 shown]
	v_mov_b32_e32 v139, v137
	v_add_co_u32 v46, vcc_lo, v0, v18
	v_add_co_ci_u32_e32 v47, vcc_lo, v1, v19, vcc_lo
	ds_read_b128 v[18:21], v198 offset:3328
	ds_read_b128 v[22:25], v198 offset:4160
	v_add_co_u32 v48, vcc_lo, 0x800, v46
	v_add_co_ci_u32_e32 v49, vcc_lo, 0, v47, vcc_lo
	s_waitcnt lgkmcnt(5)
	global_store_dwordx4 v[46:47], v[2:5], off
	ds_read_b128 v[2:5], v198 offset:4992
	ds_read_b128 v[26:29], v198 offset:5824
	ds_read_b128 v[30:33], v198 offset:6656
	ds_read_b128 v[34:37], v198 offset:7488
	ds_read_b128 v[38:41], v198 offset:8320
	ds_read_b128 v[42:45], v198 offset:9152
	v_add_co_u32 v50, vcc_lo, 0x1000, v46
	v_add_co_ci_u32_e32 v51, vcc_lo, 0, v47, vcc_lo
	s_waitcnt lgkmcnt(10)
	global_store_dwordx4 v[46:47], v[6:9], off offset:832
	s_waitcnt lgkmcnt(9)
	global_store_dwordx4 v[46:47], v[10:13], off offset:1664
	s_waitcnt lgkmcnt(8)
	global_store_dwordx4 v[48:49], v[14:17], off offset:448
	s_waitcnt lgkmcnt(7)
	global_store_dwordx4 v[48:49], v[18:21], off offset:1280
	s_waitcnt lgkmcnt(6)
	global_store_dwordx4 v[50:51], v[22:25], off offset:64
	v_add_co_u32 v6, vcc_lo, 0x1800, v46
	v_add_co_ci_u32_e32 v7, vcc_lo, 0, v47, vcc_lo
	v_add_co_u32 v48, vcc_lo, 0x2000, v46
	v_add_co_ci_u32_e32 v49, vcc_lo, 0, v47, vcc_lo
	s_waitcnt lgkmcnt(5)
	global_store_dwordx4 v[50:51], v[2:5], off offset:896
	s_waitcnt lgkmcnt(4)
	global_store_dwordx4 v[50:51], v[26:29], off offset:1728
	;; [unrolled: 2-line block ×6, first 2 shown]
	ds_read_b128 v[2:5], v198 offset:9984
	ds_read_b128 v[6:9], v198 offset:10816
	;; [unrolled: 1-line block ×5, first 2 shown]
	v_add_co_u32 v38, vcc_lo, 0x2800, v46
	v_lshlrev_b64 v[42:43], 4, v[138:139]
	ds_read_b128 v[22:25], v198 offset:14144
	ds_read_b128 v[26:29], v198 offset:14976
	;; [unrolled: 1-line block ×4, first 2 shown]
	v_add_co_ci_u32_e32 v39, vcc_lo, 0, v47, vcc_lo
	v_add_co_u32 v40, vcc_lo, 0x3000, v46
	v_add_co_ci_u32_e32 v41, vcc_lo, 0, v47, vcc_lo
	v_add_co_u32 v42, vcc_lo, v0, v42
	v_add_co_ci_u32_e32 v43, vcc_lo, v1, v43, vcc_lo
	s_waitcnt lgkmcnt(8)
	global_store_dwordx4 v[48:49], v[2:5], off offset:1792
	s_waitcnt lgkmcnt(7)
	global_store_dwordx4 v[38:39], v[6:9], off offset:576
	;; [unrolled: 2-line block ×4, first 2 shown]
	s_waitcnt lgkmcnt(4)
	global_store_dwordx4 v[42:43], v[18:21], off
	v_add_co_u32 v2, vcc_lo, 0x3800, v46
	v_add_co_ci_u32_e32 v3, vcc_lo, 0, v47, vcc_lo
	v_add_co_u32 v4, vcc_lo, 0x4000, v46
	v_add_co_ci_u32_e32 v5, vcc_lo, 0, v47, vcc_lo
	v_cmp_eq_u32_e32 vcc_lo, 51, v136
	s_waitcnt lgkmcnt(3)
	global_store_dwordx4 v[40:41], v[22:25], off offset:1856
	s_waitcnt lgkmcnt(2)
	global_store_dwordx4 v[2:3], v[26:29], off offset:640
	;; [unrolled: 2-line block ×4, first 2 shown]
	s_and_b32 exec_lo, exec_lo, vcc_lo
	s_cbranch_execz .LBB0_32
; %bb.31:
	ds_read_b128 v[2:5], v137 offset:17472
	v_add_co_u32 v0, vcc_lo, 0x4000, v0
	v_add_co_ci_u32_e32 v1, vcc_lo, 0, v1, vcc_lo
	s_waitcnt lgkmcnt(0)
	global_store_dwordx4 v[0:1], v[2:5], off offset:1088
.LBB0_32:
	s_endpgm
	.section	.rodata,"a",@progbits
	.p2align	6, 0x0
	.amdhsa_kernel fft_rtc_fwd_len1092_factors_2_2_13_7_3_wgs_52_tpt_52_halfLds_dp_ip_CI_unitstride_sbrr_R2C_dirReg
		.amdhsa_group_segment_fixed_size 0
		.amdhsa_private_segment_fixed_size 0
		.amdhsa_kernarg_size 88
		.amdhsa_user_sgpr_count 6
		.amdhsa_user_sgpr_private_segment_buffer 1
		.amdhsa_user_sgpr_dispatch_ptr 0
		.amdhsa_user_sgpr_queue_ptr 0
		.amdhsa_user_sgpr_kernarg_segment_ptr 1
		.amdhsa_user_sgpr_dispatch_id 0
		.amdhsa_user_sgpr_flat_scratch_init 0
		.amdhsa_user_sgpr_private_segment_size 0
		.amdhsa_wavefront_size32 1
		.amdhsa_uses_dynamic_stack 0
		.amdhsa_system_sgpr_private_segment_wavefront_offset 0
		.amdhsa_system_sgpr_workgroup_id_x 1
		.amdhsa_system_sgpr_workgroup_id_y 0
		.amdhsa_system_sgpr_workgroup_id_z 0
		.amdhsa_system_sgpr_workgroup_info 0
		.amdhsa_system_vgpr_workitem_id 0
		.amdhsa_next_free_vgpr 240
		.amdhsa_next_free_sgpr 44
		.amdhsa_reserve_vcc 1
		.amdhsa_reserve_flat_scratch 0
		.amdhsa_float_round_mode_32 0
		.amdhsa_float_round_mode_16_64 0
		.amdhsa_float_denorm_mode_32 3
		.amdhsa_float_denorm_mode_16_64 3
		.amdhsa_dx10_clamp 1
		.amdhsa_ieee_mode 1
		.amdhsa_fp16_overflow 0
		.amdhsa_workgroup_processor_mode 1
		.amdhsa_memory_ordered 1
		.amdhsa_forward_progress 0
		.amdhsa_shared_vgpr_count 0
		.amdhsa_exception_fp_ieee_invalid_op 0
		.amdhsa_exception_fp_denorm_src 0
		.amdhsa_exception_fp_ieee_div_zero 0
		.amdhsa_exception_fp_ieee_overflow 0
		.amdhsa_exception_fp_ieee_underflow 0
		.amdhsa_exception_fp_ieee_inexact 0
		.amdhsa_exception_int_div_zero 0
	.end_amdhsa_kernel
	.text
.Lfunc_end0:
	.size	fft_rtc_fwd_len1092_factors_2_2_13_7_3_wgs_52_tpt_52_halfLds_dp_ip_CI_unitstride_sbrr_R2C_dirReg, .Lfunc_end0-fft_rtc_fwd_len1092_factors_2_2_13_7_3_wgs_52_tpt_52_halfLds_dp_ip_CI_unitstride_sbrr_R2C_dirReg
                                        ; -- End function
	.section	.AMDGPU.csdata,"",@progbits
; Kernel info:
; codeLenInByte = 21140
; NumSgprs: 46
; NumVgprs: 240
; ScratchSize: 0
; MemoryBound: 0
; FloatMode: 240
; IeeeMode: 1
; LDSByteSize: 0 bytes/workgroup (compile time only)
; SGPRBlocks: 5
; VGPRBlocks: 29
; NumSGPRsForWavesPerEU: 46
; NumVGPRsForWavesPerEU: 240
; Occupancy: 4
; WaveLimiterHint : 1
; COMPUTE_PGM_RSRC2:SCRATCH_EN: 0
; COMPUTE_PGM_RSRC2:USER_SGPR: 6
; COMPUTE_PGM_RSRC2:TRAP_HANDLER: 0
; COMPUTE_PGM_RSRC2:TGID_X_EN: 1
; COMPUTE_PGM_RSRC2:TGID_Y_EN: 0
; COMPUTE_PGM_RSRC2:TGID_Z_EN: 0
; COMPUTE_PGM_RSRC2:TIDIG_COMP_CNT: 0
	.text
	.p2alignl 6, 3214868480
	.fill 48, 4, 3214868480
	.type	__hip_cuid_514613fc36e35f8,@object ; @__hip_cuid_514613fc36e35f8
	.section	.bss,"aw",@nobits
	.globl	__hip_cuid_514613fc36e35f8
__hip_cuid_514613fc36e35f8:
	.byte	0                               ; 0x0
	.size	__hip_cuid_514613fc36e35f8, 1

	.ident	"AMD clang version 19.0.0git (https://github.com/RadeonOpenCompute/llvm-project roc-6.4.0 25133 c7fe45cf4b819c5991fe208aaa96edf142730f1d)"
	.section	".note.GNU-stack","",@progbits
	.addrsig
	.addrsig_sym __hip_cuid_514613fc36e35f8
	.amdgpu_metadata
---
amdhsa.kernels:
  - .args:
      - .actual_access:  read_only
        .address_space:  global
        .offset:         0
        .size:           8
        .value_kind:     global_buffer
      - .offset:         8
        .size:           8
        .value_kind:     by_value
      - .actual_access:  read_only
        .address_space:  global
        .offset:         16
        .size:           8
        .value_kind:     global_buffer
      - .actual_access:  read_only
        .address_space:  global
        .offset:         24
        .size:           8
        .value_kind:     global_buffer
      - .offset:         32
        .size:           8
        .value_kind:     by_value
      - .actual_access:  read_only
        .address_space:  global
        .offset:         40
        .size:           8
        .value_kind:     global_buffer
      - .actual_access:  read_only
        .address_space:  global
        .offset:         48
        .size:           8
        .value_kind:     global_buffer
      - .offset:         56
        .size:           4
        .value_kind:     by_value
      - .actual_access:  read_only
        .address_space:  global
        .offset:         64
        .size:           8
        .value_kind:     global_buffer
      - .actual_access:  read_only
        .address_space:  global
        .offset:         72
        .size:           8
        .value_kind:     global_buffer
      - .address_space:  global
        .offset:         80
        .size:           8
        .value_kind:     global_buffer
    .group_segment_fixed_size: 0
    .kernarg_segment_align: 8
    .kernarg_segment_size: 88
    .language:       OpenCL C
    .language_version:
      - 2
      - 0
    .max_flat_workgroup_size: 52
    .name:           fft_rtc_fwd_len1092_factors_2_2_13_7_3_wgs_52_tpt_52_halfLds_dp_ip_CI_unitstride_sbrr_R2C_dirReg
    .private_segment_fixed_size: 0
    .sgpr_count:     46
    .sgpr_spill_count: 0
    .symbol:         fft_rtc_fwd_len1092_factors_2_2_13_7_3_wgs_52_tpt_52_halfLds_dp_ip_CI_unitstride_sbrr_R2C_dirReg.kd
    .uniform_work_group_size: 1
    .uses_dynamic_stack: false
    .vgpr_count:     240
    .vgpr_spill_count: 0
    .wavefront_size: 32
    .workgroup_processor_mode: 1
amdhsa.target:   amdgcn-amd-amdhsa--gfx1030
amdhsa.version:
  - 1
  - 2
...

	.end_amdgpu_metadata
